;; amdgpu-corpus repo=ROCm/rocFFT kind=compiled arch=gfx1201 opt=O3
	.text
	.amdgcn_target "amdgcn-amd-amdhsa--gfx1201"
	.amdhsa_code_object_version 6
	.protected	bluestein_single_fwd_len3072_dim1_dp_op_CI_CI ; -- Begin function bluestein_single_fwd_len3072_dim1_dp_op_CI_CI
	.globl	bluestein_single_fwd_len3072_dim1_dp_op_CI_CI
	.p2align	8
	.type	bluestein_single_fwd_len3072_dim1_dp_op_CI_CI,@function
bluestein_single_fwd_len3072_dim1_dp_op_CI_CI: ; @bluestein_single_fwd_len3072_dim1_dp_op_CI_CI
; %bb.0:
	s_load_b128 s[16:19], s[0:1], 0x28
	s_mov_b32 s2, ttmp9
	s_mov_b32 s3, 0
	s_mov_b32 s5, exec_lo
	s_wait_kmcnt 0x0
	v_cmpx_lt_u64_e64 s[2:3], s[16:17]
	s_cbranch_execz .LBB0_2
; %bb.1:
	s_clause 0x1
	s_load_b128 s[4:7], s[0:1], 0x18
	s_load_b128 s[8:11], s[0:1], 0x0
	v_dual_mov_b32 v218, s3 :: v_dual_mov_b32 v217, s2
	v_lshlrev_b32_e32 v218, 4, v0
	v_or_b32_e32 v189, 0x100, v0
	v_mul_lo_u16 v125, 0xab, v0
	v_or_b32_e32 v145, 0x200, v0
	s_load_b64 s[0:1], s[0:1], 0x38
	v_mov_b32_e32 v190, 0
	s_delay_alu instid0(VALU_DEP_3)
	v_lshrrev_b16 v127, 12, v125
	s_wait_kmcnt 0x0
	s_load_b128 s[12:15], s[4:5], 0x0
	s_wait_kmcnt 0x0
	v_mad_co_u64_u32 v[1:2], null, s14, v217, 0
	v_mad_co_u64_u32 v[3:4], null, s12, v0, 0
	s_lshl_b64 s[2:3], s[12:13], 13
	s_mul_i32 s4, s13, 0xffff7000
	s_delay_alu instid0(SALU_CYCLE_1) | instskip(NEXT) | instid1(VALU_DEP_1)
	s_sub_co_i32 s4, s4, s12
	v_mad_co_u64_u32 v[5:6], null, s15, v217, v[2:3]
	s_delay_alu instid0(VALU_DEP_1) | instskip(SKIP_2) | instid1(VALU_DEP_1)
	v_mad_co_u64_u32 v[6:7], null, s13, v0, v[4:5]
	v_mov_b32_e32 v2, v5
	s_mov_b32 s13, 0xbfebb67a
	v_lshlrev_b64_e32 v[1:2], 4, v[1:2]
	s_delay_alu instid0(VALU_DEP_3) | instskip(NEXT) | instid1(VALU_DEP_1)
	v_mov_b32_e32 v4, v6
	v_lshlrev_b64_e32 v[3:4], 4, v[3:4]
	s_delay_alu instid0(VALU_DEP_3) | instskip(NEXT) | instid1(VALU_DEP_4)
	v_add_co_u32 v1, vcc_lo, s18, v1
	v_add_co_ci_u32_e32 v2, vcc_lo, s19, v2, vcc_lo
	s_delay_alu instid0(VALU_DEP_2) | instskip(SKIP_1) | instid1(VALU_DEP_2)
	v_add_co_u32 v1, vcc_lo, v1, v3
	s_wait_alu 0xfffd
	v_add_co_ci_u32_e32 v2, vcc_lo, v2, v4, vcc_lo
	global_load_b128 v[7:10], v218, s[8:9]
	global_load_b128 v[13:16], v[1:2], off
	s_wait_alu 0xfffe
	v_add_co_u32 v1, vcc_lo, v1, s2
	s_wait_alu 0xfffd
	v_add_co_ci_u32_e32 v2, vcc_lo, s3, v2, vcc_lo
	global_load_b128 v[29:32], v218, s[8:9] offset:8192
	global_load_b128 v[17:20], v[1:2], off
	v_add_co_u32 v1, vcc_lo, v1, s2
	s_wait_alu 0xfffd
	v_add_co_ci_u32_e32 v2, vcc_lo, s3, v2, vcc_lo
	global_load_b128 v[25:28], v218, s[8:9] offset:16384
	global_load_b128 v[21:24], v[1:2], off
	v_add_co_u32 v1, vcc_lo, v1, s2
	s_wait_alu 0xfffd
	v_add_co_ci_u32_e32 v2, vcc_lo, s3, v2, vcc_lo
	s_wait_loadcnt 0x5
	scratch_store_b128 off, v[7:10], off offset:128 ; 16-byte Folded Spill
	s_wait_loadcnt 0x4
	v_mul_f64_e32 v[3:4], v[15:16], v[9:10]
	v_mul_f64_e32 v[5:6], v[13:14], v[9:10]
	s_wait_loadcnt 0x3
	scratch_store_b128 off, v[29:32], off   ; 16-byte Folded Spill
	s_wait_loadcnt 0x1
	scratch_store_b128 off, v[25:28], off offset:16 ; 16-byte Folded Spill
	v_fma_f64 v[49:50], v[13:14], v[7:8], v[3:4]
	v_fma_f64 v[51:52], v[15:16], v[7:8], -v[5:6]
	v_mul_f64_e32 v[3:4], v[19:20], v[31:32]
	v_mul_f64_e32 v[5:6], v[17:18], v[31:32]
	global_load_b128 v[7:10], v218, s[8:9] offset:24576
	v_fma_f64 v[53:54], v[17:18], v[29:30], v[3:4]
	v_fma_f64 v[55:56], v[19:20], v[29:30], -v[5:6]
	global_load_b128 v[17:20], v[1:2], off
	s_wait_loadcnt 0x2
	v_mul_f64_e32 v[3:4], v[23:24], v[27:28]
	v_mul_f64_e32 v[5:6], v[21:22], v[27:28]
	v_add_co_u32 v1, vcc_lo, v1, s2
	s_wait_alu 0xfffd
	v_add_co_ci_u32_e32 v2, vcc_lo, s3, v2, vcc_lo
	s_delay_alu instid0(VALU_DEP_4) | instskip(NEXT) | instid1(VALU_DEP_4)
	v_fma_f64 v[57:58], v[21:22], v[25:26], v[3:4]
	v_fma_f64 v[59:60], v[23:24], v[25:26], -v[5:6]
	global_load_b128 v[21:24], v[1:2], off
	v_add_co_u32 v1, vcc_lo, v1, s2
	s_wait_alu 0xfffd
	v_add_co_ci_u32_e32 v2, vcc_lo, s3, v2, vcc_lo
	global_load_b128 v[25:28], v[1:2], off
	v_mad_co_u64_u32 v[1:2], null, 0xffff7000, s12, v[1:2]
	s_delay_alu instid0(VALU_DEP_1)
	v_add_nc_u32_e32 v2, s4, v2
	global_load_b128 v[29:32], v[1:2], off
	v_add_co_u32 v1, vcc_lo, v1, s2
	s_wait_alu 0xfffd
	v_add_co_ci_u32_e32 v2, vcc_lo, s3, v2, vcc_lo
	global_load_b128 v[33:36], v[1:2], off
	v_add_co_u32 v1, vcc_lo, v1, s2
	s_wait_alu 0xfffd
	v_add_co_ci_u32_e32 v2, vcc_lo, s3, v2, vcc_lo
	global_load_b128 v[37:40], v[1:2], off
	v_add_co_u32 v1, vcc_lo, v1, s2
	s_wait_alu 0xfffd
	v_add_co_ci_u32_e32 v2, vcc_lo, s3, v2, vcc_lo
	s_wait_loadcnt 0x6
	scratch_store_b128 off, v[7:10], off offset:32 ; 16-byte Folded Spill
	s_wait_loadcnt 0x5
	v_mul_f64_e32 v[3:4], v[19:20], v[9:10]
	v_mul_f64_e32 v[5:6], v[17:18], v[9:10]
	s_delay_alu instid0(VALU_DEP_2) | instskip(NEXT) | instid1(VALU_DEP_2)
	v_fma_f64 v[61:62], v[17:18], v[7:8], v[3:4]
	v_fma_f64 v[63:64], v[19:20], v[7:8], -v[5:6]
	global_load_b128 v[7:10], v218, s[8:9] offset:32768
	s_wait_loadcnt 0x0
	v_mul_f64_e32 v[3:4], v[23:24], v[9:10]
	v_mul_f64_e32 v[5:6], v[21:22], v[9:10]
	scratch_store_b128 off, v[7:10], off offset:48 ; 16-byte Folded Spill
	v_fma_f64 v[65:66], v[21:22], v[7:8], v[3:4]
	v_fma_f64 v[67:68], v[23:24], v[7:8], -v[5:6]
	global_load_b128 v[7:10], v218, s[8:9] offset:40960
	s_wait_loadcnt 0x0
	v_mul_f64_e32 v[3:4], v[27:28], v[9:10]
	v_mul_f64_e32 v[5:6], v[25:26], v[9:10]
	scratch_store_b128 off, v[7:10], off offset:64 ; 16-byte Folded Spill
	;; [unrolled: 7-line block ×5, first 2 shown]
	v_fma_f64 v[81:82], v[37:38], v[7:8], v[3:4]
	v_fma_f64 v[83:84], v[39:40], v[7:8], -v[5:6]
	global_load_b128 v[37:40], v218, s[8:9] offset:28672
	global_load_b128 v[41:44], v[1:2], off
	v_add_co_u32 v1, vcc_lo, v1, s2
	s_wait_alu 0xfffd
	v_add_co_ci_u32_e32 v2, vcc_lo, s3, v2, vcc_lo
	s_wait_loadcnt 0x0
	v_mul_f64_e32 v[3:4], v[43:44], v[39:40]
	v_mul_f64_e32 v[5:6], v[41:42], v[39:40]
	s_delay_alu instid0(VALU_DEP_2) | instskip(NEXT) | instid1(VALU_DEP_2)
	v_fma_f64 v[85:86], v[41:42], v[37:38], v[3:4]
	v_fma_f64 v[87:88], v[43:44], v[37:38], -v[5:6]
	global_load_b128 v[41:44], v218, s[8:9] offset:36864
	global_load_b128 v[45:48], v[1:2], off
	v_add_co_u32 v1, vcc_lo, v1, s2
	s_wait_alu 0xfffd
	v_add_co_ci_u32_e32 v2, vcc_lo, s3, v2, vcc_lo
	s_mov_b32 s2, 0xe8584caa
	s_mov_b32 s3, 0x3febb67a
	s_wait_alu 0xfffe
	s_mov_b32 s12, s2
	v_cmp_gt_u64_e32 vcc_lo, 0x180, v[189:190]
	s_wait_loadcnt 0x0
	v_mul_f64_e32 v[3:4], v[47:48], v[43:44]
	v_mul_f64_e32 v[5:6], v[45:46], v[43:44]
	s_delay_alu instid0(VALU_DEP_2) | instskip(NEXT) | instid1(VALU_DEP_2)
	v_fma_f64 v[89:90], v[45:46], v[41:42], v[3:4]
	v_fma_f64 v[91:92], v[47:48], v[41:42], -v[5:6]
	global_load_b128 v[93:96], v[1:2], off
	global_load_b128 v[45:48], v218, s[8:9] offset:45056
	s_wait_loadcnt 0x0
	v_mul_f64_e32 v[1:2], v[95:96], v[47:48]
	v_mul_f64_e32 v[3:4], v[93:94], v[47:48]
	s_delay_alu instid0(VALU_DEP_2) | instskip(NEXT) | instid1(VALU_DEP_2)
	v_fma_f64 v[93:94], v[93:94], v[45:46], v[1:2]
	v_fma_f64 v[95:96], v[95:96], v[45:46], -v[3:4]
	ds_store_b128 v218, v[49:52]
	ds_store_b128 v218, v[53:56] offset:8192
	ds_store_b128 v218, v[57:60] offset:16384
	;; [unrolled: 1-line block ×11, first 2 shown]
	s_load_b128 s[4:7], s[6:7], 0x0
	global_wb scope:SCOPE_SE
	s_wait_storecnt_dscnt 0x0
	s_wait_kmcnt 0x0
	s_barrier_signal -1
	s_barrier_wait -1
	global_inv scope:SCOPE_SE
	ds_load_b128 v[49:52], v218 offset:16384
	ds_load_b128 v[53:56], v218
	ds_load_b128 v[57:60], v218 offset:32768
	s_wait_dscnt 0x1
	v_add_f64_e32 v[1:2], v[53:54], v[49:50]
	v_add_f64_e32 v[3:4], v[55:56], v[51:52]
	s_wait_dscnt 0x0
	v_add_f64_e32 v[5:6], v[49:50], v[57:58]
	v_add_f64_e32 v[7:8], v[51:52], v[59:60]
	v_add_f64_e64 v[9:10], v[51:52], -v[59:60]
	v_add_f64_e64 v[11:12], v[49:50], -v[57:58]
	v_add_f64_e32 v[1:2], v[1:2], v[57:58]
	v_add_f64_e32 v[3:4], v[3:4], v[59:60]
	ds_load_b128 v[49:52], v218 offset:24576
	ds_load_b128 v[57:60], v218 offset:8192
	;; [unrolled: 1-line block ×3, first 2 shown]
	v_fma_f64 v[5:6], v[5:6], -0.5, v[53:54]
	v_fma_f64 v[7:8], v[7:8], -0.5, v[55:56]
	s_wait_dscnt 0x1
	v_add_f64_e32 v[13:14], v[57:58], v[49:50]
	v_add_f64_e32 v[15:16], v[59:60], v[51:52]
	s_wait_dscnt 0x0
	v_add_f64_e32 v[17:18], v[51:52], v[63:64]
	v_add_f64_e32 v[19:20], v[49:50], v[61:62]
	v_add_f64_e64 v[21:22], v[51:52], -v[63:64]
	v_add_f64_e64 v[23:24], v[49:50], -v[61:62]
	v_add_f64_e32 v[13:14], v[13:14], v[61:62]
	v_add_f64_e32 v[15:16], v[15:16], v[63:64]
	ds_load_b128 v[49:52], v218 offset:20480
	ds_load_b128 v[61:64], v218 offset:4096
	;; [unrolled: 1-line block ×3, first 2 shown]
	v_fma_f64 v[17:18], v[17:18], -0.5, v[59:60]
	v_fma_f64 v[19:20], v[19:20], -0.5, v[57:58]
	s_wait_dscnt 0x1
	v_add_f64_e32 v[25:26], v[61:62], v[49:50]
	v_add_f64_e32 v[27:28], v[63:64], v[51:52]
	s_wait_dscnt 0x0
	v_add_f64_e32 v[29:30], v[49:50], v[65:66]
	v_add_f64_e32 v[31:32], v[51:52], v[67:68]
	v_add_f64_e64 v[33:34], v[51:52], -v[67:68]
	v_add_f64_e64 v[35:36], v[49:50], -v[65:66]
	;; [unrolled: 1-line block ×4, first 2 shown]
	v_add_f64_e32 v[25:26], v[25:26], v[65:66]
	v_add_f64_e32 v[27:28], v[27:28], v[67:68]
	ds_load_b128 v[49:52], v218 offset:28672
	ds_load_b128 v[65:68], v218 offset:12288
	;; [unrolled: 1-line block ×3, first 2 shown]
	v_fma_f64 v[31:32], v[31:32], -0.5, v[63:64]
	v_fma_f64 v[29:30], v[29:30], -0.5, v[61:62]
	global_wb scope:SCOPE_SE
	s_wait_dscnt 0x0
	s_barrier_signal -1
	s_barrier_wait -1
	global_inv scope:SCOPE_SE
	v_add_f64_e32 v[73:74], v[65:66], v[49:50]
	v_add_f64_e32 v[79:80], v[49:50], v[69:70]
	v_add_f64_e64 v[91:92], v[49:50], -v[69:70]
	v_add_f64_e32 v[49:50], v[1:2], v[13:14]
	v_fma_f64 v[1:2], v[23:24], s[12:13], v[17:18]
	v_add_f64_e32 v[75:76], v[67:68], v[51:52]
	v_add_f64_e32 v[77:78], v[51:52], v[71:72]
	v_add_f64_e64 v[89:90], v[51:52], -v[71:72]
	v_add_f64_e32 v[51:52], v[3:4], v[15:16]
	v_fma_f64 v[3:4], v[21:22], s[2:3], v[19:20]
	v_fma_f64 v[15:16], v[11:12], s[12:13], v[7:8]
	;; [unrolled: 1-line block ×3, first 2 shown]
	v_add_f64_e32 v[69:70], v[73:74], v[69:70]
	v_fma_f64 v[95:96], v[79:80], -0.5, v[65:66]
	v_mul_f64_e32 v[13:14], s[2:3], v[1:2]
	v_add_f64_e32 v[71:72], v[75:76], v[71:72]
	v_fma_f64 v[93:94], v[77:78], -0.5, v[67:68]
	v_add_f64_e32 v[57:58], v[25:26], v[69:70]
	v_add_f64_e64 v[61:62], v[25:26], -v[69:70]
	v_fma_f64 v[13:14], v[3:4], 0.5, v[13:14]
	v_mul_f64_e32 v[3:4], s[12:13], v[3:4]
	v_add_f64_e32 v[59:60], v[27:28], v[71:72]
	v_add_f64_e64 v[63:64], v[27:28], -v[71:72]
	s_delay_alu instid0(VALU_DEP_3) | instskip(SKIP_2) | instid1(VALU_DEP_3)
	v_fma_f64 v[1:2], v[1:2], 0.5, v[3:4]
	v_fma_f64 v[3:4], v[9:10], s[2:3], v[5:6]
	v_fma_f64 v[5:6], v[9:10], s[12:13], v[5:6]
	v_add_f64_e32 v[67:68], v[15:16], v[1:2]
	v_add_f64_e64 v[71:72], v[15:16], -v[1:2]
	v_fma_f64 v[1:2], v[21:22], s[12:13], v[19:20]
	v_add_f64_e32 v[65:66], v[3:4], v[13:14]
	v_add_f64_e64 v[69:70], v[3:4], -v[13:14]
	v_fma_f64 v[3:4], v[23:24], s[2:3], v[17:18]
	v_mul_u32_u24_e32 v21, 0x2aab, v145
	v_mul_f64_e32 v[9:10], -0.5, v[1:2]
	s_delay_alu instid0(VALU_DEP_1) | instskip(SKIP_1) | instid1(VALU_DEP_2)
	v_fma_f64 v[9:10], v[3:4], s[2:3], v[9:10]
	v_mul_f64_e32 v[3:4], -0.5, v[3:4]
	v_add_f64_e32 v[73:74], v[5:6], v[9:10]
	s_delay_alu instid0(VALU_DEP_2) | instskip(SKIP_2) | instid1(VALU_DEP_3)
	v_fma_f64 v[1:2], v[1:2], s[12:13], v[3:4]
	v_add_f64_e64 v[77:78], v[5:6], -v[9:10]
	v_fma_f64 v[3:4], v[89:90], s[2:3], v[95:96]
	v_add_f64_e32 v[75:76], v[7:8], v[1:2]
	v_add_f64_e64 v[79:80], v[7:8], -v[1:2]
	v_fma_f64 v[1:2], v[91:92], s[12:13], v[93:94]
	v_fma_f64 v[7:8], v[35:36], s[12:13], v[31:32]
	s_delay_alu instid0(VALU_DEP_2) | instskip(NEXT) | instid1(VALU_DEP_1)
	v_mul_f64_e32 v[5:6], s[2:3], v[1:2]
	v_fma_f64 v[5:6], v[3:4], 0.5, v[5:6]
	v_mul_f64_e32 v[3:4], s[12:13], v[3:4]
	s_delay_alu instid0(VALU_DEP_1) | instskip(SKIP_1) | instid1(VALU_DEP_2)
	v_fma_f64 v[1:2], v[1:2], 0.5, v[3:4]
	v_fma_f64 v[3:4], v[33:34], s[2:3], v[29:30]
	v_add_f64_e32 v[83:84], v[7:8], v[1:2]
	v_add_f64_e64 v[87:88], v[7:8], -v[1:2]
	v_fma_f64 v[1:2], v[89:90], s[12:13], v[95:96]
	s_delay_alu instid0(VALU_DEP_4)
	v_add_f64_e32 v[81:82], v[3:4], v[5:6]
	v_add_f64_e64 v[85:86], v[3:4], -v[5:6]
	v_fma_f64 v[3:4], v[91:92], s[2:3], v[93:94]
	v_fma_f64 v[5:6], v[33:34], s[12:13], v[29:30]
	;; [unrolled: 1-line block ×3, first 2 shown]
	v_lshrrev_b16 v36, 14, v125
	v_mul_f64_e32 v[9:10], -0.5, v[1:2]
	s_delay_alu instid0(VALU_DEP_1) | instskip(SKIP_1) | instid1(VALU_DEP_2)
	v_fma_f64 v[9:10], v[3:4], s[2:3], v[9:10]
	v_mul_f64_e32 v[3:4], -0.5, v[3:4]
	v_add_f64_e32 v[89:90], v[5:6], v[9:10]
	s_delay_alu instid0(VALU_DEP_2) | instskip(SKIP_2) | instid1(VALU_DEP_3)
	v_fma_f64 v[1:2], v[1:2], s[12:13], v[3:4]
	v_add_f64_e64 v[93:94], v[5:6], -v[9:10]
	v_mul_u32_u24_e32 v9, 0x2aab, v189
	v_add_f64_e32 v[91:92], v[7:8], v[1:2]
	v_add_f64_e64 v[95:96], v[7:8], -v[1:2]
	v_mul_u32_u24_e32 v1, 6, v0
	s_delay_alu instid0(VALU_DEP_1)
	v_lshlrev_b32_e32 v220, 4, v1
	v_mul_u32_u24_e32 v1, 6, v189
	ds_store_b128 v220, v[49:52]
	ds_store_b128 v220, v[53:56] offset:48
	ds_store_b128 v220, v[65:68] offset:16
	;; [unrolled: 1-line block ×5, first 2 shown]
	v_lshlrev_b32_e32 v219, 4, v1
	ds_store_b128 v219, v[57:60]
	ds_store_b128 v219, v[81:84] offset:16
	ds_store_b128 v219, v[89:92] offset:32
	;; [unrolled: 1-line block ×5, first 2 shown]
	v_lshrrev_b16 v90, 10, v125
	global_wb scope:SCOPE_SE
	s_wait_dscnt 0x0
	s_barrier_signal -1
	s_barrier_wait -1
	global_inv scope:SCOPE_SE
	v_mul_lo_u16 v1, v90, 6
	ds_load_b128 v[53:56], v218 offset:12288
	v_lshrrev_b32_e32 v91, 16, v9
	ds_load_b128 v[61:64], v218 offset:36864
	ds_load_b128 v[77:80], v218 offset:32768
	v_sub_nc_u16 v1, v0, v1
	v_lshrrev_b32_e32 v93, 16, v21
	v_mul_lo_u16 v9, v91, 6
	ds_load_b128 v[73:76], v218 offset:40960
	ds_load_b128 v[95:98], v218 offset:45056
	v_and_b32_e32 v89, 0xff, v1
	v_mul_lo_u16 v21, v93, 6
	v_sub_nc_u16 v92, v189, v9
	s_delay_alu instid0(VALU_DEP_3) | instskip(NEXT) | instid1(VALU_DEP_2)
	v_mad_co_u64_u32 v[1:2], null, v89, 48, s[10:11]
	v_mul_lo_u16 v9, v92, 48
	s_delay_alu instid0(VALU_DEP_4) | instskip(NEXT) | instid1(VALU_DEP_2)
	v_sub_nc_u16 v94, v145, v21
	v_and_b32_e32 v9, 0xffff, v9
	s_clause 0x1
	global_load_b128 v[49:52], v[1:2], off
	global_load_b128 v[57:60], v[1:2], off offset:16
	v_mul_lo_u16 v21, v94, 48
	v_add_co_u32 v9, s14, s10, v9
	s_wait_alu 0xf1ff
	v_add_co_ci_u32_e64 v10, null, s11, 0, s14
	s_delay_alu instid0(VALU_DEP_3)
	v_and_b32_e32 v21, 0xffff, v21
	s_clause 0x1
	global_load_b128 v[65:68], v[9:10], off offset:16
	global_load_b128 v[69:72], v[9:10], off
	v_add_co_u32 v21, s14, s10, v21
	s_wait_alu 0xf1ff
	v_add_co_ci_u32_e64 v22, null, s11, 0, s14
	global_load_b128 v[81:84], v[21:22], off
	s_wait_loadcnt_dscnt 0x404
	v_mul_f64_e32 v[3:4], v[55:56], v[51:52]
	s_delay_alu instid0(VALU_DEP_1) | instskip(SKIP_1) | instid1(VALU_DEP_1)
	v_fma_f64 v[85:86], v[53:54], v[49:50], -v[3:4]
	v_mul_f64_e32 v[3:4], v[53:54], v[51:52]
	v_fma_f64 v[87:88], v[55:56], v[49:50], v[3:4]
	ds_load_b128 v[53:56], v218 offset:24576
	s_wait_loadcnt_dscnt 0x300
	v_mul_f64_e32 v[3:4], v[55:56], v[59:60]
	v_mul_f64_e32 v[5:6], v[53:54], v[59:60]
	s_delay_alu instid0(VALU_DEP_2) | instskip(NEXT) | instid1(VALU_DEP_2)
	v_fma_f64 v[3:4], v[53:54], v[57:58], -v[3:4]
	v_fma_f64 v[5:6], v[55:56], v[57:58], v[5:6]
	global_load_b128 v[53:56], v[1:2], off offset:32
	s_wait_loadcnt 0x0
	v_mul_f64_e32 v[1:2], v[63:64], v[55:56]
	v_mul_f64_e32 v[7:8], v[61:62], v[55:56]
	s_delay_alu instid0(VALU_DEP_2) | instskip(NEXT) | instid1(VALU_DEP_2)
	v_fma_f64 v[1:2], v[61:62], v[53:54], -v[1:2]
	v_fma_f64 v[7:8], v[63:64], v[53:54], v[7:8]
	ds_load_b128 v[61:64], v218 offset:16384
	s_wait_dscnt 0x0
	v_mul_f64_e32 v[11:12], v[63:64], v[71:72]
	v_mul_f64_e32 v[13:14], v[61:62], v[71:72]
	v_add_f64_e64 v[1:2], v[85:86], -v[1:2]
	v_add_f64_e64 v[7:8], v[87:88], -v[7:8]
	s_delay_alu instid0(VALU_DEP_4) | instskip(NEXT) | instid1(VALU_DEP_4)
	v_fma_f64 v[11:12], v[61:62], v[69:70], -v[11:12]
	v_fma_f64 v[13:14], v[63:64], v[69:70], v[13:14]
	ds_load_b128 v[61:64], v218 offset:28672
	s_wait_dscnt 0x0
	v_mul_f64_e32 v[15:16], v[63:64], v[67:68]
	v_mul_f64_e32 v[17:18], v[61:62], v[67:68]
	s_delay_alu instid0(VALU_DEP_2) | instskip(NEXT) | instid1(VALU_DEP_2)
	v_fma_f64 v[15:16], v[61:62], v[65:66], -v[15:16]
	v_fma_f64 v[17:18], v[63:64], v[65:66], v[17:18]
	global_load_b128 v[61:64], v[9:10], off offset:32
	s_wait_loadcnt 0x0
	v_mul_f64_e32 v[9:10], v[75:76], v[63:64]
	v_mul_f64_e32 v[19:20], v[73:74], v[63:64]
	s_delay_alu instid0(VALU_DEP_2) | instskip(NEXT) | instid1(VALU_DEP_2)
	v_fma_f64 v[9:10], v[73:74], v[61:62], -v[9:10]
	v_fma_f64 v[19:20], v[75:76], v[61:62], v[19:20]
	ds_load_b128 v[73:76], v218 offset:20480
	s_wait_dscnt 0x0
	v_mul_f64_e32 v[23:24], v[75:76], v[83:84]
	v_mul_f64_e32 v[25:26], v[73:74], v[83:84]
	v_add_f64_e64 v[9:10], v[11:12], -v[9:10]
	s_delay_alu instid0(VALU_DEP_3) | instskip(NEXT) | instid1(VALU_DEP_3)
	v_fma_f64 v[23:24], v[73:74], v[81:82], -v[23:24]
	v_fma_f64 v[25:26], v[75:76], v[81:82], v[25:26]
	global_load_b128 v[73:76], v[21:22], off offset:16
	v_fma_f64 v[11:12], v[11:12], 2.0, -v[9:10]
	s_wait_loadcnt 0x0
	v_mul_f64_e32 v[27:28], v[79:80], v[75:76]
	v_mul_f64_e32 v[29:30], v[77:78], v[75:76]
	s_delay_alu instid0(VALU_DEP_2) | instskip(NEXT) | instid1(VALU_DEP_2)
	v_fma_f64 v[27:28], v[77:78], v[73:74], -v[27:28]
	v_fma_f64 v[29:30], v[79:80], v[73:74], v[29:30]
	global_load_b128 v[77:80], v[21:22], off offset:32
	s_wait_loadcnt 0x0
	v_mul_f64_e32 v[21:22], v[97:98], v[79:80]
	v_mul_f64_e32 v[31:32], v[95:96], v[79:80]
	s_delay_alu instid0(VALU_DEP_2) | instskip(NEXT) | instid1(VALU_DEP_2)
	v_fma_f64 v[21:22], v[95:96], v[77:78], -v[21:22]
	v_fma_f64 v[34:35], v[97:98], v[77:78], v[31:32]
	ds_load_b128 v[95:98], v218
	ds_load_b128 v[103:106], v218 offset:8192
	ds_load_b128 v[107:110], v218 offset:4096
	global_wb scope:SCOPE_SE
	s_wait_dscnt 0x0
	s_barrier_signal -1
	s_barrier_wait -1
	global_inv scope:SCOPE_SE
	v_add_f64_e64 v[3:4], v[95:96], -v[3:4]
	v_add_f64_e64 v[5:6], v[97:98], -v[5:6]
	s_delay_alu instid0(VALU_DEP_2) | instskip(SKIP_1) | instid1(VALU_DEP_3)
	v_fma_f64 v[111:112], v[95:96], 2.0, -v[3:4]
	v_add_f64_e64 v[95:96], v[3:4], -v[7:8]
	v_fma_f64 v[113:114], v[97:98], 2.0, -v[5:6]
	v_add_f64_e32 v[97:98], v[5:6], v[1:2]
	v_fma_f64 v[1:2], v[85:86], 2.0, -v[1:2]
	s_delay_alu instid0(VALU_DEP_4) | instskip(SKIP_1) | instid1(VALU_DEP_4)
	v_fma_f64 v[99:100], v[3:4], 2.0, -v[95:96]
	v_and_b32_e32 v3, 0xffff, v90
	v_fma_f64 v[101:102], v[5:6], 2.0, -v[97:98]
	s_delay_alu instid0(VALU_DEP_4) | instskip(SKIP_3) | instid1(VALU_DEP_1)
	v_add_f64_e64 v[85:86], v[111:112], -v[1:2]
	v_add_f64_e64 v[1:2], v[107:108], -v[15:16]
	;; [unrolled: 1-line block ×3, first 2 shown]
	v_mul_u32_u24_e32 v3, 24, v3
	v_or_b32_e32 v3, v3, v89
	s_delay_alu instid0(VALU_DEP_1)
	v_lshlrev_b32_e32 v32, 4, v3
	v_fma_f64 v[3:4], v[87:88], 2.0, -v[7:8]
	ds_store_b128 v32, v[95:98] offset:288
	v_fma_f64 v[95:96], v[111:112], 2.0, -v[85:86]
	v_fma_f64 v[5:6], v[107:108], 2.0, -v[1:2]
	;; [unrolled: 1-line block ×3, first 2 shown]
	v_add_f64_e64 v[89:90], v[1:2], -v[15:16]
	v_add_f64_e64 v[87:88], v[113:114], -v[3:4]
	;; [unrolled: 1-line block ×3, first 2 shown]
	s_delay_alu instid0(VALU_DEP_2) | instskip(NEXT) | instid1(VALU_DEP_2)
	v_fma_f64 v[97:98], v[113:114], 2.0, -v[87:88]
	v_fma_f64 v[7:8], v[109:110], 2.0, -v[3:4]
	ds_store_b128 v32, v[85:88] offset:192
	ds_store_b128 v32, v[99:102] offset:96
	ds_store_b128 v32, v[95:98]
	v_add_f64_e64 v[85:86], v[5:6], -v[11:12]
	v_add_f64_e64 v[11:12], v[25:26], -v[34:35]
	;; [unrolled: 1-line block ×3, first 2 shown]
	s_delay_alu instid0(VALU_DEP_3) | instskip(SKIP_1) | instid1(VALU_DEP_3)
	v_fma_f64 v[95:96], v[5:6], 2.0, -v[85:86]
	v_mul_lo_u16 v5, v91, 24
	v_fma_f64 v[97:98], v[7:8], 2.0, -v[87:88]
	v_fma_f64 v[15:16], v[25:26], 2.0, -v[11:12]
	s_delay_alu instid0(VALU_DEP_3) | instskip(SKIP_3) | instid1(VALU_DEP_4)
	v_or_b32_e32 v5, v5, v92
	v_add_f64_e32 v[91:92], v[3:4], v[9:10]
	v_add_f64_e64 v[9:10], v[23:24], -v[21:22]
	v_mul_u32_u24_e32 v21, 0xaab, v145
	v_and_b32_e32 v5, 0xffff, v5
	s_delay_alu instid0(VALU_DEP_2) | instskip(NEXT) | instid1(VALU_DEP_2)
	v_lshrrev_b32_e32 v130, 16, v21
	v_lshlrev_b32_e32 v33, 4, v5
	s_delay_alu instid0(VALU_DEP_2) | instskip(NEXT) | instid1(VALU_DEP_1)
	v_mul_lo_u16 v21, v130, 24
	v_sub_nc_u16 v131, v145, v21
	s_delay_alu instid0(VALU_DEP_1) | instskip(NEXT) | instid1(VALU_DEP_1)
	v_mul_lo_u16 v21, v131, 48
	v_and_b32_e32 v21, 0xffff, v21
	ds_store_b128 v33, v[95:98]
	v_fma_f64 v[95:96], v[1:2], 2.0, -v[89:90]
	v_add_f64_e64 v[1:2], v[103:104], -v[27:28]
	v_fma_f64 v[97:98], v[3:4], 2.0, -v[91:92]
	v_add_f64_e64 v[3:4], v[105:106], -v[29:30]
	v_fma_f64 v[13:14], v[23:24], 2.0, -v[9:10]
	ds_store_b128 v33, v[95:98] offset:96
	ds_store_b128 v33, v[85:88] offset:192
	;; [unrolled: 1-line block ×3, first 2 shown]
	v_fma_f64 v[5:6], v[103:104], 2.0, -v[1:2]
	v_fma_f64 v[7:8], v[105:106], 2.0, -v[3:4]
	s_delay_alu instid0(VALU_DEP_2) | instskip(NEXT) | instid1(VALU_DEP_2)
	v_add_f64_e64 v[85:86], v[5:6], -v[13:14]
	v_add_f64_e64 v[87:88], v[7:8], -v[15:16]
	s_delay_alu instid0(VALU_DEP_2) | instskip(NEXT) | instid1(VALU_DEP_2)
	v_fma_f64 v[89:90], v[5:6], 2.0, -v[85:86]
	v_fma_f64 v[91:92], v[7:8], 2.0, -v[87:88]
	v_mul_lo_u16 v5, v93, 24
	s_delay_alu instid0(VALU_DEP_1) | instskip(NEXT) | instid1(VALU_DEP_1)
	v_or_b32_e32 v5, v5, v94
	v_and_b32_e32 v5, 0xffff, v5
	s_delay_alu instid0(VALU_DEP_1) | instskip(SKIP_4) | instid1(VALU_DEP_1)
	v_lshlrev_b32_e32 v255, 4, v5
	ds_store_b128 v255, v[89:92]
	v_add_f64_e64 v[89:90], v[1:2], -v[11:12]
	v_add_f64_e32 v[91:92], v[3:4], v[9:10]
	v_mul_u32_u24_e32 v9, 0xaab, v189
	v_lshrrev_b32_e32 v128, 16, v9
	s_delay_alu instid0(VALU_DEP_1) | instskip(NEXT) | instid1(VALU_DEP_1)
	v_mul_lo_u16 v9, v128, 24
	v_sub_nc_u16 v129, v189, v9
	s_delay_alu instid0(VALU_DEP_1) | instskip(NEXT) | instid1(VALU_DEP_1)
	v_mul_lo_u16 v9, v129, 48
	v_and_b32_e32 v9, 0xffff, v9
	s_delay_alu instid0(VALU_DEP_1)
	v_add_co_u32 v9, s14, s10, v9
	s_wait_alu 0xf1ff
	v_add_co_ci_u32_e64 v10, null, s11, 0, s14
	v_add_co_u32 v21, s14, s10, v21
	v_fma_f64 v[93:94], v[1:2], 2.0, -v[89:90]
	v_fma_f64 v[95:96], v[3:4], 2.0, -v[91:92]
	v_mul_lo_u16 v1, v127, 24
	ds_store_b128 v255, v[93:96] offset:96
	ds_store_b128 v255, v[85:88] offset:192
	;; [unrolled: 1-line block ×3, first 2 shown]
	v_sub_nc_u16 v1, v0, v1
	global_wb scope:SCOPE_SE
	s_wait_dscnt 0x0
	s_barrier_signal -1
	s_barrier_wait -1
	global_inv scope:SCOPE_SE
	v_and_b32_e32 v126, 0xff, v1
	ds_load_b128 v[89:92], v218 offset:12288
	ds_load_b128 v[101:104], v218 offset:16384
	;; [unrolled: 1-line block ×4, first 2 shown]
	v_mad_co_u64_u32 v[1:2], null, v126, 48, s[10:11]
	ds_load_b128 v[105:108], v218 offset:28672
	ds_load_b128 v[109:112], v218 offset:40960
	;; [unrolled: 1-line block ×3, first 2 shown]
	s_wait_alu 0xf1ff
	v_add_co_ci_u32_e64 v22, null, s11, 0, s14
	ds_load_b128 v[113:116], v218 offset:20480
	s_clause 0x1
	global_load_b128 v[85:88], v[1:2], off offset:288
	global_load_b128 v[93:96], v[1:2], off offset:304
	s_wait_loadcnt_dscnt 0x107
	v_mul_f64_e32 v[3:4], v[91:92], v[87:88]
	s_delay_alu instid0(VALU_DEP_1) | instskip(SKIP_1) | instid1(VALU_DEP_1)
	v_fma_f64 v[121:122], v[89:90], v[85:86], -v[3:4]
	v_mul_f64_e32 v[3:4], v[89:90], v[87:88]
	v_fma_f64 v[123:124], v[91:92], v[85:86], v[3:4]
	ds_load_b128 v[89:92], v218 offset:24576
	s_wait_loadcnt_dscnt 0x0
	v_mul_f64_e32 v[3:4], v[91:92], v[95:96]
	v_mul_f64_e32 v[5:6], v[89:90], v[95:96]
	s_delay_alu instid0(VALU_DEP_2) | instskip(NEXT) | instid1(VALU_DEP_2)
	v_fma_f64 v[3:4], v[89:90], v[93:94], -v[3:4]
	v_fma_f64 v[5:6], v[91:92], v[93:94], v[5:6]
	global_load_b128 v[89:92], v[1:2], off offset:320
	s_wait_loadcnt 0x0
	v_mul_f64_e32 v[1:2], v[99:100], v[91:92]
	v_mul_f64_e32 v[7:8], v[97:98], v[91:92]
	s_delay_alu instid0(VALU_DEP_2) | instskip(NEXT) | instid1(VALU_DEP_2)
	v_fma_f64 v[1:2], v[97:98], v[89:90], -v[1:2]
	v_fma_f64 v[7:8], v[99:100], v[89:90], v[7:8]
	global_load_b128 v[97:100], v[9:10], off offset:288
	v_add_f64_e64 v[1:2], v[121:122], -v[1:2]
	v_add_f64_e64 v[7:8], v[123:124], -v[7:8]
	s_wait_loadcnt 0x0
	v_mul_f64_e32 v[11:12], v[103:104], v[99:100]
	v_mul_f64_e32 v[13:14], v[101:102], v[99:100]
	s_delay_alu instid0(VALU_DEP_2) | instskip(NEXT) | instid1(VALU_DEP_2)
	v_fma_f64 v[11:12], v[101:102], v[97:98], -v[11:12]
	v_fma_f64 v[13:14], v[103:104], v[97:98], v[13:14]
	global_load_b128 v[101:104], v[9:10], off offset:304
	s_wait_loadcnt 0x0
	v_mul_f64_e32 v[15:16], v[107:108], v[103:104]
	v_mul_f64_e32 v[17:18], v[105:106], v[103:104]
	s_delay_alu instid0(VALU_DEP_2) | instskip(NEXT) | instid1(VALU_DEP_2)
	v_fma_f64 v[15:16], v[105:106], v[101:102], -v[15:16]
	v_fma_f64 v[17:18], v[107:108], v[101:102], v[17:18]
	global_load_b128 v[105:108], v[9:10], off offset:320
	;; [unrolled: 7-line block ×3, first 2 shown]
	v_add_f64_e64 v[9:10], v[11:12], -v[9:10]
	s_delay_alu instid0(VALU_DEP_1) | instskip(SKIP_3) | instid1(VALU_DEP_2)
	v_fma_f64 v[11:12], v[11:12], 2.0, -v[9:10]
	s_wait_loadcnt 0x0
	v_mul_f64_e32 v[23:24], v[115:116], v[111:112]
	v_mul_f64_e32 v[25:26], v[113:114], v[111:112]
	v_fma_f64 v[23:24], v[113:114], v[109:110], -v[23:24]
	s_delay_alu instid0(VALU_DEP_2) | instskip(SKIP_4) | instid1(VALU_DEP_2)
	v_fma_f64 v[25:26], v[115:116], v[109:110], v[25:26]
	global_load_b128 v[113:116], v[21:22], off offset:304
	s_wait_loadcnt 0x0
	v_mul_f64_e32 v[27:28], v[119:120], v[115:116]
	v_mul_f64_e32 v[29:30], v[117:118], v[115:116]
	v_fma_f64 v[27:28], v[117:118], v[113:114], -v[27:28]
	s_delay_alu instid0(VALU_DEP_2) | instskip(SKIP_4) | instid1(VALU_DEP_2)
	v_fma_f64 v[29:30], v[119:120], v[113:114], v[29:30]
	global_load_b128 v[117:120], v[21:22], off offset:320
	s_wait_loadcnt 0x0
	v_mul_f64_e32 v[21:22], v[134:135], v[119:120]
	v_mul_f64_e32 v[34:35], v[132:133], v[119:120]
	v_fma_f64 v[21:22], v[132:133], v[117:118], -v[21:22]
	s_delay_alu instid0(VALU_DEP_2)
	v_fma_f64 v[34:35], v[134:135], v[117:118], v[34:35]
	ds_load_b128 v[132:135], v218
	ds_load_b128 v[140:143], v218 offset:8192
	ds_load_b128 v[146:149], v218 offset:4096
	global_wb scope:SCOPE_SE
	s_wait_dscnt 0x0
	s_barrier_signal -1
	s_barrier_wait -1
	global_inv scope:SCOPE_SE
	v_add_f64_e64 v[3:4], v[132:133], -v[3:4]
	v_add_f64_e64 v[5:6], v[134:135], -v[5:6]
	s_delay_alu instid0(VALU_DEP_2) | instskip(SKIP_1) | instid1(VALU_DEP_3)
	v_fma_f64 v[150:151], v[132:133], 2.0, -v[3:4]
	v_add_f64_e64 v[132:133], v[3:4], -v[7:8]
	v_fma_f64 v[152:153], v[134:135], 2.0, -v[5:6]
	v_add_f64_e32 v[134:135], v[5:6], v[1:2]
	v_fma_f64 v[1:2], v[121:122], 2.0, -v[1:2]
	s_delay_alu instid0(VALU_DEP_4) | instskip(SKIP_1) | instid1(VALU_DEP_4)
	v_fma_f64 v[136:137], v[3:4], 2.0, -v[132:133]
	v_and_b32_e32 v3, 0xffff, v127
	v_fma_f64 v[138:139], v[5:6], 2.0, -v[134:135]
	s_delay_alu instid0(VALU_DEP_4) | instskip(SKIP_3) | instid1(VALU_DEP_1)
	v_add_f64_e64 v[121:122], v[150:151], -v[1:2]
	v_add_f64_e64 v[1:2], v[146:147], -v[15:16]
	;; [unrolled: 1-line block ×3, first 2 shown]
	v_mul_u32_u24_e32 v3, 0x60, v3
	v_or_b32_e32 v3, v3, v126
	s_delay_alu instid0(VALU_DEP_1)
	v_lshlrev_b32_e32 v225, 4, v3
	v_fma_f64 v[3:4], v[123:124], 2.0, -v[7:8]
	ds_store_b128 v225, v[132:135] offset:1152
	v_fma_f64 v[132:133], v[150:151], 2.0, -v[121:122]
	v_fma_f64 v[5:6], v[146:147], 2.0, -v[1:2]
	;; [unrolled: 1-line block ×3, first 2 shown]
	v_add_f64_e64 v[126:127], v[1:2], -v[15:16]
	v_add_f64_e64 v[123:124], v[152:153], -v[3:4]
	;; [unrolled: 1-line block ×3, first 2 shown]
	s_delay_alu instid0(VALU_DEP_2) | instskip(NEXT) | instid1(VALU_DEP_2)
	v_fma_f64 v[134:135], v[152:153], 2.0, -v[123:124]
	v_fma_f64 v[7:8], v[148:149], 2.0, -v[3:4]
	ds_store_b128 v225, v[121:124] offset:768
	ds_store_b128 v225, v[136:139] offset:384
	ds_store_b128 v225, v[132:135]
	v_add_f64_e64 v[121:122], v[5:6], -v[11:12]
	v_add_f64_e64 v[11:12], v[25:26], -v[34:35]
	;; [unrolled: 1-line block ×3, first 2 shown]
	s_delay_alu instid0(VALU_DEP_3) | instskip(SKIP_1) | instid1(VALU_DEP_3)
	v_fma_f64 v[132:133], v[5:6], 2.0, -v[121:122]
	v_mul_lo_u16 v5, 0x60, v128
	v_fma_f64 v[134:135], v[7:8], 2.0, -v[123:124]
	v_fma_f64 v[15:16], v[25:26], 2.0, -v[11:12]
	v_mul_u32_u24_e32 v26, 0x2ab, v145
	s_delay_alu instid0(VALU_DEP_4) | instskip(SKIP_2) | instid1(VALU_DEP_4)
	v_or_b32_e32 v5, v5, v129
	v_add_f64_e32 v[128:129], v[3:4], v[9:10]
	v_add_f64_e64 v[9:10], v[23:24], -v[21:22]
	v_lshrrev_b32_e32 v183, 16, v26
	s_delay_alu instid0(VALU_DEP_4) | instskip(NEXT) | instid1(VALU_DEP_2)
	v_and_b32_e32 v5, 0xffff, v5
	v_mul_lo_u16 v26, 0x60, v183
	s_delay_alu instid0(VALU_DEP_2) | instskip(NEXT) | instid1(VALU_DEP_2)
	v_lshlrev_b32_e32 v226, 4, v5
	v_sub_nc_u16 v184, v145, v26
	s_delay_alu instid0(VALU_DEP_1) | instskip(NEXT) | instid1(VALU_DEP_1)
	v_mul_lo_u16 v26, v184, 48
	v_and_b32_e32 v26, 0xffff, v26
	ds_store_b128 v226, v[132:135]
	v_fma_f64 v[132:133], v[1:2], 2.0, -v[126:127]
	v_add_f64_e64 v[1:2], v[140:141], -v[27:28]
	v_fma_f64 v[134:135], v[3:4], 2.0, -v[128:129]
	v_add_f64_e64 v[3:4], v[142:143], -v[29:30]
	v_fma_f64 v[13:14], v[23:24], 2.0, -v[9:10]
	ds_store_b128 v226, v[132:135] offset:384
	ds_store_b128 v226, v[121:124] offset:768
	;; [unrolled: 1-line block ×3, first 2 shown]
	v_fma_f64 v[5:6], v[140:141], 2.0, -v[1:2]
	v_fma_f64 v[7:8], v[142:143], 2.0, -v[3:4]
	s_delay_alu instid0(VALU_DEP_2) | instskip(NEXT) | instid1(VALU_DEP_2)
	v_add_f64_e64 v[121:122], v[5:6], -v[13:14]
	v_add_f64_e64 v[123:124], v[7:8], -v[15:16]
	v_mul_u32_u24_e32 v13, 0x2ab, v189
	s_delay_alu instid0(VALU_DEP_1) | instskip(NEXT) | instid1(VALU_DEP_1)
	v_lshrrev_b32_e32 v181, 16, v13
	v_mul_lo_u16 v13, 0x60, v181
	s_delay_alu instid0(VALU_DEP_1) | instskip(NEXT) | instid1(VALU_DEP_1)
	v_sub_nc_u16 v182, v189, v13
	v_mul_lo_u16 v13, v182, 48
	s_delay_alu instid0(VALU_DEP_1) | instskip(NEXT) | instid1(VALU_DEP_1)
	v_and_b32_e32 v13, 0xffff, v13
	v_add_co_u32 v13, s14, s10, v13
	s_wait_alu 0xf1ff
	v_add_co_ci_u32_e64 v14, null, s11, 0, s14
	v_add_co_u32 v26, s14, s10, v26
	v_fma_f64 v[126:127], v[5:6], 2.0, -v[121:122]
	v_fma_f64 v[128:129], v[7:8], 2.0, -v[123:124]
	v_mul_lo_u16 v5, 0x60, v130
	s_wait_alu 0xf1ff
	v_add_co_ci_u32_e64 v27, null, s11, 0, s14
	s_delay_alu instid0(VALU_DEP_2) | instskip(NEXT) | instid1(VALU_DEP_1)
	v_or_b32_e32 v5, v5, v131
	v_and_b32_e32 v5, 0xffff, v5
	s_delay_alu instid0(VALU_DEP_1) | instskip(SKIP_3) | instid1(VALU_DEP_2)
	v_lshlrev_b32_e32 v23, 4, v5
	ds_store_b128 v23, v[126:129]
	v_add_f64_e64 v[126:127], v[1:2], -v[11:12]
	v_add_f64_e32 v[128:129], v[3:4], v[9:10]
	v_fma_f64 v[130:131], v[1:2], 2.0, -v[126:127]
	s_delay_alu instid0(VALU_DEP_2)
	v_fma_f64 v[132:133], v[3:4], 2.0, -v[128:129]
	v_mul_lo_u16 v1, 0x60, v36
	ds_store_b128 v23, v[130:133] offset:384
	ds_store_b128 v23, v[121:124] offset:768
	;; [unrolled: 1-line block ×3, first 2 shown]
	v_sub_nc_u16 v1, v0, v1
	global_wb scope:SCOPE_SE
	s_wait_dscnt 0x0
	s_barrier_signal -1
	s_barrier_wait -1
	global_inv scope:SCOPE_SE
	v_and_b32_e32 v165, 0xff, v1
	ds_load_b128 v[125:128], v218 offset:12288
	ds_load_b128 v[137:140], v218 offset:16384
	ds_load_b128 v[129:132], v218 offset:24576
	ds_load_b128 v[141:144], v218 offset:28672
	v_mad_co_u64_u32 v[1:2], null, v165, 48, s[10:11]
	ds_load_b128 v[133:136], v218 offset:36864
	ds_load_b128 v[153:156], v218 offset:32768
	;; [unrolled: 1-line block ×4, first 2 shown]
	global_load_b128 v[121:124], v[1:2], off offset:1440
	s_wait_loadcnt_dscnt 0x7
	v_mul_f64_e32 v[3:4], v[127:128], v[123:124]
	v_mul_f64_e32 v[5:6], v[125:126], v[123:124]
	s_delay_alu instid0(VALU_DEP_2) | instskip(NEXT) | instid1(VALU_DEP_2)
	v_fma_f64 v[3:4], v[125:126], v[121:122], -v[3:4]
	v_fma_f64 v[5:6], v[127:128], v[121:122], v[5:6]
	global_load_b128 v[125:128], v[1:2], off offset:1456
	s_wait_loadcnt_dscnt 0x5
	v_mul_f64_e32 v[7:8], v[131:132], v[127:128]
	v_mul_f64_e32 v[9:10], v[129:130], v[127:128]
	s_delay_alu instid0(VALU_DEP_2) | instskip(NEXT) | instid1(VALU_DEP_2)
	v_fma_f64 v[7:8], v[129:130], v[125:126], -v[7:8]
	v_fma_f64 v[9:10], v[131:132], v[125:126], v[9:10]
	;; [unrolled: 7-line block ×3, first 2 shown]
	global_load_b128 v[133:136], v[13:14], off offset:1440
	v_add_f64_e64 v[1:2], v[3:4], -v[1:2]
	v_add_f64_e64 v[11:12], v[5:6], -v[11:12]
	s_wait_loadcnt 0x0
	v_mul_f64_e32 v[15:16], v[139:140], v[135:136]
	v_mul_f64_e32 v[17:18], v[137:138], v[135:136]
	s_delay_alu instid0(VALU_DEP_2) | instskip(NEXT) | instid1(VALU_DEP_2)
	v_fma_f64 v[15:16], v[137:138], v[133:134], -v[15:16]
	v_fma_f64 v[17:18], v[139:140], v[133:134], v[17:18]
	global_load_b128 v[137:140], v[13:14], off offset:1456
	s_wait_loadcnt 0x0
	v_mul_f64_e32 v[19:20], v[143:144], v[139:140]
	v_mul_f64_e32 v[21:22], v[141:142], v[139:140]
	s_delay_alu instid0(VALU_DEP_2) | instskip(NEXT) | instid1(VALU_DEP_2)
	v_fma_f64 v[19:20], v[141:142], v[137:138], -v[19:20]
	v_fma_f64 v[21:22], v[143:144], v[137:138], v[21:22]
	global_load_b128 v[141:144], v[13:14], off offset:1472
	s_wait_loadcnt_dscnt 0x1
	v_mul_f64_e32 v[13:14], v[148:149], v[143:144]
	v_mul_f64_e32 v[24:25], v[146:147], v[143:144]
	s_delay_alu instid0(VALU_DEP_2) | instskip(NEXT) | instid1(VALU_DEP_2)
	v_fma_f64 v[13:14], v[146:147], v[141:142], -v[13:14]
	v_fma_f64 v[24:25], v[148:149], v[141:142], v[24:25]
	global_load_b128 v[145:148], v[26:27], off offset:1440
	ds_load_b128 v[149:152], v218 offset:20480
	s_wait_loadcnt_dscnt 0x0
	v_mul_f64_e32 v[28:29], v[151:152], v[147:148]
	v_mul_f64_e32 v[30:31], v[149:150], v[147:148]
	s_delay_alu instid0(VALU_DEP_2) | instskip(NEXT) | instid1(VALU_DEP_2)
	v_fma_f64 v[28:29], v[149:150], v[145:146], -v[28:29]
	v_fma_f64 v[30:31], v[151:152], v[145:146], v[30:31]
	global_load_b128 v[149:152], v[26:27], off offset:1456
	s_wait_loadcnt 0x0
	v_mul_f64_e32 v[34:35], v[155:156], v[151:152]
	s_delay_alu instid0(VALU_DEP_1) | instskip(SKIP_1) | instid1(VALU_DEP_1)
	v_fma_f64 v[34:35], v[153:154], v[149:150], -v[34:35]
	v_mul_f64_e32 v[153:154], v[153:154], v[151:152]
	v_fma_f64 v[177:178], v[155:156], v[149:150], v[153:154]
	global_load_b128 v[153:156], v[26:27], off offset:1472
	s_wait_loadcnt 0x0
	v_mul_f64_e32 v[26:27], v[159:160], v[155:156]
	s_delay_alu instid0(VALU_DEP_1) | instskip(SKIP_1) | instid1(VALU_DEP_1)
	v_fma_f64 v[26:27], v[157:158], v[153:154], -v[26:27]
	v_mul_f64_e32 v[157:158], v[157:158], v[155:156]
	v_fma_f64 v[179:180], v[159:160], v[153:154], v[157:158]
	ds_load_b128 v[157:160], v218
	s_wait_dscnt 0x0
	v_add_f64_e64 v[7:8], v[157:158], -v[7:8]
	v_add_f64_e64 v[9:10], v[159:160], -v[9:10]
	s_delay_alu instid0(VALU_DEP_2) | instskip(SKIP_1) | instid1(VALU_DEP_3)
	v_fma_f64 v[173:174], v[157:158], 2.0, -v[7:8]
	v_add_f64_e64 v[157:158], v[7:8], -v[11:12]
	v_fma_f64 v[175:176], v[159:160], 2.0, -v[9:10]
	v_add_f64_e32 v[159:160], v[9:10], v[1:2]
	v_fma_f64 v[1:2], v[3:4], 2.0, -v[1:2]
	v_fma_f64 v[3:4], v[5:6], 2.0, -v[11:12]
	v_add_f64_e64 v[11:12], v[17:18], -v[24:25]
	v_fma_f64 v[161:162], v[7:8], 2.0, -v[157:158]
	v_and_b32_e32 v7, 0xffff, v36
	v_fma_f64 v[163:164], v[9:10], 2.0, -v[159:160]
	v_add_f64_e64 v[9:10], v[15:16], -v[13:14]
	s_delay_alu instid0(VALU_DEP_3) | instskip(NEXT) | instid1(VALU_DEP_1)
	v_mul_u32_u24_e32 v7, 0x180, v7
	v_or_b32_e32 v7, v7, v165
	ds_load_b128 v[165:168], v218 offset:8192
	ds_load_b128 v[169:172], v218 offset:4096
	global_wb scope:SCOPE_SE
	s_wait_dscnt 0x0
	s_barrier_signal -1
	s_barrier_wait -1
	v_lshlrev_b32_e32 v228, 4, v7
	global_inv scope:SCOPE_SE
	ds_store_b128 v228, v[157:160] offset:4608
	v_add_f64_e64 v[157:158], v[173:174], -v[1:2]
	v_add_f64_e64 v[159:160], v[175:176], -v[3:4]
	;; [unrolled: 1-line block ×4, first 2 shown]
	v_fma_f64 v[13:14], v[15:16], 2.0, -v[9:10]
	v_fma_f64 v[15:16], v[17:18], 2.0, -v[11:12]
	;; [unrolled: 1-line block ×4, first 2 shown]
	ds_store_b128 v228, v[157:160] offset:3072
	ds_store_b128 v228, v[161:164] offset:1536
	ds_store_b128 v228, v[173:176]
	v_fma_f64 v[5:6], v[169:170], 2.0, -v[1:2]
	v_fma_f64 v[7:8], v[171:172], 2.0, -v[3:4]
	s_delay_alu instid0(VALU_DEP_2) | instskip(NEXT) | instid1(VALU_DEP_2)
	v_add_f64_e64 v[157:158], v[5:6], -v[13:14]
	v_add_f64_e64 v[159:160], v[7:8], -v[15:16]
	s_delay_alu instid0(VALU_DEP_2) | instskip(NEXT) | instid1(VALU_DEP_2)
	v_fma_f64 v[161:162], v[5:6], 2.0, -v[157:158]
	v_fma_f64 v[163:164], v[7:8], 2.0, -v[159:160]
	v_mul_lo_u16 v5, 0x180, v181
	s_delay_alu instid0(VALU_DEP_1) | instskip(NEXT) | instid1(VALU_DEP_1)
	v_or_b32_e32 v5, v5, v182
	v_and_b32_e32 v5, 0xffff, v5
	s_delay_alu instid0(VALU_DEP_1)
	v_lshlrev_b32_e32 v229, 4, v5
	ds_store_b128 v229, v[161:164]
	v_add_f64_e64 v[161:162], v[1:2], -v[11:12]
	v_add_f64_e32 v[163:164], v[3:4], v[9:10]
	v_add_f64_e64 v[9:10], v[28:29], -v[26:27]
	v_add_f64_e64 v[11:12], v[30:31], -v[179:180]
	s_delay_alu instid0(VALU_DEP_4) | instskip(NEXT) | instid1(VALU_DEP_4)
	v_fma_f64 v[169:170], v[1:2], 2.0, -v[161:162]
	v_fma_f64 v[171:172], v[3:4], 2.0, -v[163:164]
	v_add_f64_e64 v[1:2], v[165:166], -v[34:35]
	v_add_f64_e64 v[3:4], v[167:168], -v[177:178]
	v_fma_f64 v[13:14], v[28:29], 2.0, -v[9:10]
	v_fma_f64 v[15:16], v[30:31], 2.0, -v[11:12]
	ds_store_b128 v229, v[169:172] offset:1536
	ds_store_b128 v229, v[157:160] offset:3072
	ds_store_b128 v229, v[161:164] offset:4608
	v_fma_f64 v[5:6], v[165:166], 2.0, -v[1:2]
	v_fma_f64 v[7:8], v[167:168], 2.0, -v[3:4]
	s_delay_alu instid0(VALU_DEP_2) | instskip(NEXT) | instid1(VALU_DEP_2)
	v_add_f64_e64 v[157:158], v[5:6], -v[13:14]
	v_add_f64_e64 v[159:160], v[7:8], -v[15:16]
	v_add_nc_u32_e32 v15, 0xffffff80, v0
	s_delay_alu instid0(VALU_DEP_1) | instskip(NEXT) | instid1(VALU_DEP_1)
	v_cndmask_b32_e32 v36, v15, v189, vcc_lo
	v_mul_i32_i24_e32 v15, 48, v36
	v_mul_hi_i32_i24_e32 v16, 48, v36
	s_delay_alu instid0(VALU_DEP_2) | instskip(SKIP_1) | instid1(VALU_DEP_2)
	v_add_co_u32 v15, vcc_lo, s10, v15
	s_wait_alu 0xfffd
	v_add_co_ci_u32_e32 v16, vcc_lo, s11, v16, vcc_lo
	v_cmp_lt_u64_e32 vcc_lo, 0x17f, v[189:190]
	v_fma_f64 v[161:162], v[5:6], 2.0, -v[157:158]
	v_fma_f64 v[163:164], v[7:8], 2.0, -v[159:160]
	v_mul_lo_u16 v5, 0x180, v183
	s_delay_alu instid0(VALU_DEP_1) | instskip(NEXT) | instid1(VALU_DEP_1)
	v_or_b32_e32 v5, v5, v184
	v_and_b32_e32 v5, 0xffff, v5
	s_delay_alu instid0(VALU_DEP_1) | instskip(SKIP_3) | instid1(VALU_DEP_2)
	v_lshlrev_b32_e32 v227, 4, v5
	ds_store_b128 v227, v[161:164]
	v_add_f64_e64 v[161:162], v[1:2], -v[11:12]
	v_add_f64_e32 v[163:164], v[3:4], v[9:10]
	v_fma_f64 v[165:166], v[1:2], 2.0, -v[161:162]
	s_delay_alu instid0(VALU_DEP_2)
	v_fma_f64 v[167:168], v[3:4], 2.0, -v[163:164]
	v_mad_co_u64_u32 v[1:2], null, v0, 48, s[10:11]
	ds_store_b128 v227, v[165:168] offset:1536
	ds_store_b128 v227, v[157:160] offset:3072
	;; [unrolled: 1-line block ×3, first 2 shown]
	global_wb scope:SCOPE_SE
	s_wait_dscnt 0x0
	s_barrier_signal -1
	s_barrier_wait -1
	global_inv scope:SCOPE_SE
	global_load_b128 v[157:160], v[1:2], off offset:6048
	ds_load_b128 v[161:164], v218 offset:12288
	ds_load_b128 v[173:176], v218 offset:16384
	ds_load_b128 v[165:168], v218 offset:24576
	ds_load_b128 v[185:188], v218 offset:20480
	ds_load_b128 v[169:172], v218 offset:36864
	ds_load_b128 v[191:194], v218 offset:32768
	ds_load_b128 v[177:180], v218 offset:28672
	ds_load_b128 v[181:184], v218 offset:40960
	ds_load_b128 v[197:200], v218 offset:45056
	s_wait_loadcnt_dscnt 0x8
	v_mul_f64_e32 v[3:4], v[163:164], v[159:160]
	v_mul_f64_e32 v[5:6], v[161:162], v[159:160]
	s_delay_alu instid0(VALU_DEP_2) | instskip(NEXT) | instid1(VALU_DEP_2)
	v_fma_f64 v[3:4], v[161:162], v[157:158], -v[3:4]
	v_fma_f64 v[5:6], v[163:164], v[157:158], v[5:6]
	global_load_b128 v[161:164], v[1:2], off offset:6064
	s_wait_loadcnt_dscnt 0x6
	v_mul_f64_e32 v[7:8], v[167:168], v[163:164]
	v_mul_f64_e32 v[9:10], v[165:166], v[163:164]
	s_delay_alu instid0(VALU_DEP_2) | instskip(NEXT) | instid1(VALU_DEP_2)
	v_fma_f64 v[7:8], v[165:166], v[161:162], -v[7:8]
	v_fma_f64 v[9:10], v[167:168], v[161:162], v[9:10]
	global_load_b128 v[165:168], v[1:2], off offset:6080
	;; [unrolled: 7-line block ×3, first 2 shown]
	v_add_f64_e64 v[11:12], v[3:4], -v[11:12]
	v_add_f64_e64 v[13:14], v[5:6], -v[13:14]
	s_delay_alu instid0(VALU_DEP_2) | instskip(NEXT) | instid1(VALU_DEP_2)
	v_fma_f64 v[3:4], v[3:4], 2.0, -v[11:12]
	v_fma_f64 v[5:6], v[5:6], 2.0, -v[13:14]
	s_wait_loadcnt 0x0
	v_mul_f64_e32 v[17:18], v[175:176], v[171:172]
	v_mul_f64_e32 v[19:20], v[173:174], v[171:172]
	s_delay_alu instid0(VALU_DEP_2) | instskip(NEXT) | instid1(VALU_DEP_2)
	v_fma_f64 v[17:18], v[173:174], v[169:170], -v[17:18]
	v_fma_f64 v[19:20], v[175:176], v[169:170], v[19:20]
	global_load_b128 v[173:176], v[15:16], off offset:6064
	s_wait_loadcnt_dscnt 0x2
	v_mul_f64_e32 v[21:22], v[179:180], v[175:176]
	v_mul_f64_e32 v[24:25], v[177:178], v[175:176]
	s_delay_alu instid0(VALU_DEP_2) | instskip(NEXT) | instid1(VALU_DEP_2)
	v_fma_f64 v[21:22], v[177:178], v[173:174], -v[21:22]
	v_fma_f64 v[24:25], v[179:180], v[173:174], v[24:25]
	global_load_b128 v[177:180], v[15:16], off offset:6080
	s_wait_loadcnt_dscnt 0x1
	v_mul_f64_e32 v[15:16], v[183:184], v[179:180]
	v_mul_f64_e32 v[26:27], v[181:182], v[179:180]
	s_delay_alu instid0(VALU_DEP_2) | instskip(NEXT) | instid1(VALU_DEP_2)
	v_fma_f64 v[15:16], v[181:182], v[177:178], -v[15:16]
	v_fma_f64 v[26:27], v[183:184], v[177:178], v[26:27]
	global_load_b128 v[181:184], v[1:2], off offset:12192
	s_wait_loadcnt 0x0
	v_mul_f64_e32 v[28:29], v[187:188], v[183:184]
	v_mul_f64_e32 v[30:31], v[185:186], v[183:184]
	s_delay_alu instid0(VALU_DEP_2) | instskip(NEXT) | instid1(VALU_DEP_2)
	v_fma_f64 v[28:29], v[185:186], v[181:182], -v[28:29]
	v_fma_f64 v[30:31], v[187:188], v[181:182], v[30:31]
	global_load_b128 v[185:188], v[1:2], off offset:12208
	s_wait_loadcnt 0x0
	v_mul_f64_e32 v[34:35], v[193:194], v[187:188]
	s_delay_alu instid0(VALU_DEP_1) | instskip(SKIP_1) | instid1(VALU_DEP_1)
	v_fma_f64 v[34:35], v[191:192], v[185:186], -v[34:35]
	v_mul_f64_e32 v[191:192], v[191:192], v[187:188]
	v_fma_f64 v[221:222], v[193:194], v[185:186], v[191:192]
	global_load_b128 v[193:196], v[1:2], off offset:12224
	s_wait_loadcnt_dscnt 0x0
	v_mul_f64_e32 v[1:2], v[199:200], v[195:196]
	v_mul_f64_e32 v[191:192], v[197:198], v[195:196]
	s_delay_alu instid0(VALU_DEP_2) | instskip(NEXT) | instid1(VALU_DEP_2)
	v_fma_f64 v[1:2], v[197:198], v[193:194], -v[1:2]
	v_fma_f64 v[223:224], v[199:200], v[193:194], v[191:192]
	ds_load_b128 v[197:200], v218
	ds_load_b128 v[205:208], v218 offset:8192
	ds_load_b128 v[209:212], v218 offset:4096
	global_wb scope:SCOPE_SE
	s_wait_dscnt 0x0
	s_barrier_signal -1
	s_barrier_wait -1
	global_inv scope:SCOPE_SE
	v_add_f64_e64 v[7:8], v[197:198], -v[7:8]
	v_add_f64_e64 v[9:10], v[199:200], -v[9:10]
	;; [unrolled: 1-line block ×3, first 2 shown]
	s_delay_alu instid0(VALU_DEP_3) | instskip(NEXT) | instid1(VALU_DEP_3)
	v_fma_f64 v[191:192], v[197:198], 2.0, -v[7:8]
	v_fma_f64 v[215:216], v[199:200], 2.0, -v[9:10]
	v_add_f64_e64 v[197:198], v[7:8], -v[13:14]
	v_add_f64_e32 v[199:200], v[9:10], v[11:12]
	v_add_f64_e64 v[11:12], v[17:18], -v[15:16]
	v_add_f64_e64 v[13:14], v[19:20], -v[26:27]
	s_delay_alu instid0(VALU_DEP_4) | instskip(NEXT) | instid1(VALU_DEP_4)
	v_fma_f64 v[201:202], v[7:8], 2.0, -v[197:198]
	v_fma_f64 v[203:204], v[9:10], 2.0, -v[199:200]
	ds_store_b128 v218, v[197:200] offset:18432
	v_add_f64_e64 v[197:198], v[191:192], -v[3:4]
	v_add_f64_e64 v[199:200], v[215:216], -v[5:6]
	;; [unrolled: 1-line block ×4, first 2 shown]
	v_fma_f64 v[15:16], v[17:18], 2.0, -v[11:12]
	v_fma_f64 v[17:18], v[19:20], 2.0, -v[13:14]
	;; [unrolled: 1-line block ×6, first 2 shown]
	ds_store_b128 v218, v[197:200] offset:12288
	ds_store_b128 v218, v[201:204] offset:6144
	ds_store_b128 v218, v[213:216]
	v_add_f64_e64 v[189:190], v[3:4], -v[13:14]
	v_add_f64_e32 v[191:192], v[5:6], v[11:12]
	v_add_f64_e64 v[197:198], v[7:8], -v[15:16]
	v_add_f64_e64 v[199:200], v[9:10], -v[17:18]
	;; [unrolled: 1-line block ×3, first 2 shown]
	s_delay_alu instid0(VALU_DEP_3) | instskip(NEXT) | instid1(VALU_DEP_3)
	v_fma_f64 v[201:202], v[7:8], 2.0, -v[197:198]
	v_fma_f64 v[203:204], v[9:10], 2.0, -v[199:200]
	s_wait_alu 0xfffd
	v_cndmask_b32_e64 v7, 0, 0x600, vcc_lo
	s_delay_alu instid0(VALU_DEP_1) | instskip(NEXT) | instid1(VALU_DEP_1)
	v_or_b32_e32 v7, v7, v36
	v_lshlrev_b32_e32 v230, 4, v7
	ds_store_b128 v230, v[201:204]
	v_fma_f64 v[201:202], v[3:4], 2.0, -v[189:190]
	v_fma_f64 v[203:204], v[5:6], 2.0, -v[191:192]
	v_add_f64_e64 v[3:4], v[205:206], -v[34:35]
	v_add_f64_e64 v[5:6], v[207:208], -v[221:222]
	ds_store_b128 v230, v[201:204] offset:6144
	ds_store_b128 v230, v[197:200] offset:12288
	;; [unrolled: 1-line block ×3, first 2 shown]
	v_add_f64_e64 v[189:190], v[3:4], -v[11:12]
	v_add_f64_e32 v[191:192], v[5:6], v[1:2]
	v_fma_f64 v[7:8], v[205:206], 2.0, -v[3:4]
	v_fma_f64 v[9:10], v[207:208], 2.0, -v[5:6]
	;; [unrolled: 1-line block ×6, first 2 shown]
	ds_store_b128 v218, v[197:200] offset:32768
	v_add_f64_e64 v[197:198], v[7:8], -v[1:2]
	v_add_f64_e64 v[199:200], v[9:10], -v[3:4]
	s_delay_alu instid0(VALU_DEP_2) | instskip(NEXT) | instid1(VALU_DEP_2)
	v_fma_f64 v[201:202], v[7:8], 2.0, -v[197:198]
	v_fma_f64 v[203:204], v[9:10], 2.0, -v[199:200]
	ds_store_b128 v218, v[197:200] offset:38912
	ds_store_b128 v218, v[201:204] offset:26624
	;; [unrolled: 1-line block ×3, first 2 shown]
	global_wb scope:SCOPE_SE
	s_wait_dscnt 0x0
	s_barrier_signal -1
	s_barrier_wait -1
	global_inv scope:SCOPE_SE
	global_load_b128 v[189:192], v218, s[10:11] offset:24480
	ds_load_b128 v[197:200], v218 offset:24576
	ds_load_b128 v[201:204], v218 offset:28672
	;; [unrolled: 1-line block ×9, first 2 shown]
	s_wait_loadcnt_dscnt 0x8
	v_mul_f64_e32 v[1:2], v[199:200], v[191:192]
	v_mul_f64_e32 v[3:4], v[197:198], v[191:192]
	s_delay_alu instid0(VALU_DEP_2) | instskip(NEXT) | instid1(VALU_DEP_2)
	v_fma_f64 v[1:2], v[197:198], v[189:190], -v[1:2]
	v_fma_f64 v[3:4], v[199:200], v[189:190], v[3:4]
	global_load_b128 v[197:200], v218, s[10:11] offset:28576
	s_wait_loadcnt_dscnt 0x7
	v_mul_f64_e32 v[5:6], v[203:204], v[199:200]
	v_mul_f64_e32 v[7:8], v[201:202], v[199:200]
	s_delay_alu instid0(VALU_DEP_2) | instskip(NEXT) | instid1(VALU_DEP_2)
	v_fma_f64 v[5:6], v[201:202], v[197:198], -v[5:6]
	v_fma_f64 v[7:8], v[203:204], v[197:198], v[7:8]
	global_load_b128 v[201:204], v218, s[10:11] offset:32672
	s_wait_dscnt 0x0
	v_add_f64_e64 v[243:244], v[239:240], -v[5:6]
	v_add_f64_e64 v[245:246], v[241:242], -v[7:8]
	ds_load_b128 v[5:8], v218 offset:16384
	v_fma_f64 v[239:240], v[239:240], 2.0, -v[243:244]
	v_fma_f64 v[241:242], v[241:242], 2.0, -v[245:246]
	s_wait_loadcnt 0x0
	v_mul_f64_e32 v[9:10], v[207:208], v[203:204]
	v_mul_f64_e32 v[11:12], v[205:206], v[203:204]
	s_delay_alu instid0(VALU_DEP_2) | instskip(NEXT) | instid1(VALU_DEP_2)
	v_fma_f64 v[9:10], v[205:206], v[201:202], -v[9:10]
	v_fma_f64 v[11:12], v[207:208], v[201:202], v[11:12]
	global_load_b128 v[205:208], v218, s[10:11] offset:36768
	v_add_f64_e64 v[251:252], v[247:248], -v[9:10]
	v_add_f64_e64 v[253:254], v[249:250], -v[11:12]
	s_delay_alu instid0(VALU_DEP_2) | instskip(NEXT) | instid1(VALU_DEP_2)
	v_fma_f64 v[247:248], v[247:248], 2.0, -v[251:252]
	v_fma_f64 v[249:250], v[249:250], 2.0, -v[253:254]
	s_wait_loadcnt 0x0
	v_mul_f64_e32 v[13:14], v[211:212], v[207:208]
	v_mul_f64_e32 v[15:16], v[209:210], v[207:208]
	s_delay_alu instid0(VALU_DEP_2) | instskip(NEXT) | instid1(VALU_DEP_2)
	v_fma_f64 v[13:14], v[209:210], v[205:206], -v[13:14]
	v_fma_f64 v[15:16], v[211:212], v[205:206], v[15:16]
	global_load_b128 v[209:212], v218, s[10:11] offset:40864
	s_wait_loadcnt 0x0
	v_mul_f64_e32 v[17:18], v[215:216], v[211:212]
	v_mul_f64_e32 v[19:20], v[213:214], v[211:212]
	s_delay_alu instid0(VALU_DEP_2) | instskip(NEXT) | instid1(VALU_DEP_2)
	v_fma_f64 v[17:18], v[213:214], v[209:210], -v[17:18]
	v_fma_f64 v[19:20], v[215:216], v[209:210], v[19:20]
	global_load_b128 v[213:216], v218, s[10:11] offset:44960
	s_wait_loadcnt 0x0
	v_mul_f64_e32 v[21:22], v[233:234], v[215:216]
	v_mul_f64_e32 v[24:25], v[231:232], v[215:216]
	s_delay_alu instid0(VALU_DEP_2) | instskip(NEXT) | instid1(VALU_DEP_2)
	v_fma_f64 v[21:22], v[231:232], v[213:214], -v[21:22]
	v_fma_f64 v[24:25], v[233:234], v[213:214], v[24:25]
	ds_load_b128 v[231:234], v218
	s_wait_dscnt 0x0
	v_add_f64_e64 v[235:236], v[231:232], -v[1:2]
	v_add_f64_e64 v[237:238], v[233:234], -v[3:4]
	;; [unrolled: 1-line block ×4, first 2 shown]
	ds_load_b128 v[13:16], v218 offset:20480
	v_add_f64_e64 v[9:10], v[5:6], -v[17:18]
	v_add_f64_e64 v[11:12], v[7:8], -v[19:20]
	s_wait_dscnt 0x0
	v_add_f64_e64 v[17:18], v[13:14], -v[21:22]
	v_add_f64_e64 v[19:20], v[15:16], -v[24:25]
	v_fma_f64 v[231:232], v[231:232], 2.0, -v[235:236]
	v_fma_f64 v[233:234], v[233:234], 2.0, -v[237:238]
	;; [unrolled: 1-line block ×8, first 2 shown]
	ds_store_b128 v218, v[235:238] offset:24576
	ds_store_b128 v218, v[243:246] offset:28672
	;; [unrolled: 1-line block ×6, first 2 shown]
	ds_store_b128 v218, v[231:234]
	ds_store_b128 v218, v[239:242] offset:4096
	ds_store_b128 v218, v[247:250] offset:8192
	;; [unrolled: 1-line block ×5, first 2 shown]
	global_wb scope:SCOPE_SE
	s_wait_dscnt 0x0
	s_barrier_signal -1
	s_barrier_wait -1
	global_inv scope:SCOPE_SE
	global_load_b128 v[1:4], v218, s[8:9] offset:49152
	ds_load_b128 v[5:8], v218
	ds_load_b128 v[243:246], v218 offset:4096
	s_add_nc_u64 s[8:9], s[8:9], 0xc000
	ds_load_b128 v[17:20], v218 offset:16384
	ds_load_b128 v[251:254], v218 offset:20480
	;; [unrolled: 1-line block ×7, first 2 shown]
	global_load_b128 v[221:224], v218, s[8:9] offset:24576
	ds_load_b128 v[247:250], v218 offset:12288
	s_wait_loadcnt_dscnt 0x109
	v_mul_f64_e32 v[9:10], v[7:8], v[3:4]
	v_mul_f64_e32 v[11:12], v[5:6], v[3:4]
	s_delay_alu instid0(VALU_DEP_2) | instskip(NEXT) | instid1(VALU_DEP_2)
	v_fma_f64 v[3:4], v[5:6], v[1:2], -v[9:10]
	v_fma_f64 v[5:6], v[7:8], v[1:2], v[11:12]
	global_load_b128 v[7:10], v218, s[8:9] offset:8192
	ds_load_b128 v[11:14], v218 offset:8192
	s_wait_loadcnt_dscnt 0x0
	v_mul_f64_e32 v[1:2], v[13:14], v[9:10]
	v_mul_f64_e32 v[15:16], v[11:12], v[9:10]
	s_delay_alu instid0(VALU_DEP_2) | instskip(NEXT) | instid1(VALU_DEP_2)
	v_fma_f64 v[9:10], v[11:12], v[7:8], -v[1:2]
	v_fma_f64 v[11:12], v[13:14], v[7:8], v[15:16]
	global_load_b128 v[13:16], v218, s[8:9] offset:16384
	s_wait_loadcnt 0x0
	v_mul_f64_e32 v[1:2], v[19:20], v[15:16]
	v_mul_f64_e32 v[7:8], v[17:18], v[15:16]
	s_delay_alu instid0(VALU_DEP_2) | instskip(NEXT) | instid1(VALU_DEP_2)
	v_fma_f64 v[15:16], v[17:18], v[13:14], -v[1:2]
	v_fma_f64 v[17:18], v[19:20], v[13:14], v[7:8]
	ds_load_b128 v[19:22], v218 offset:28672
	v_mul_f64_e32 v[1:2], v[233:234], v[223:224]
	v_mul_f64_e32 v[7:8], v[231:232], v[223:224]
	s_delay_alu instid0(VALU_DEP_2) | instskip(NEXT) | instid1(VALU_DEP_2)
	v_fma_f64 v[231:232], v[231:232], v[221:222], -v[1:2]
	v_fma_f64 v[233:234], v[233:234], v[221:222], v[7:8]
	global_load_b128 v[221:224], v218, s[8:9] offset:32768
	s_wait_loadcnt 0x0
	v_mul_f64_e32 v[1:2], v[237:238], v[223:224]
	v_mul_f64_e32 v[7:8], v[235:236], v[223:224]
	s_delay_alu instid0(VALU_DEP_2) | instskip(NEXT) | instid1(VALU_DEP_2)
	v_fma_f64 v[235:236], v[235:236], v[221:222], -v[1:2]
	v_fma_f64 v[237:238], v[237:238], v[221:222], v[7:8]
	global_load_b128 v[221:224], v218, s[8:9] offset:40960
	s_wait_loadcnt 0x0
	;; [unrolled: 7-line block ×5, first 2 shown]
	v_mul_f64_e32 v[1:2], v[253:254], v[223:224]
	v_mul_f64_e32 v[7:8], v[251:252], v[223:224]
	s_delay_alu instid0(VALU_DEP_2) | instskip(NEXT) | instid1(VALU_DEP_2)
	v_fma_f64 v[251:252], v[251:252], v[221:222], -v[1:2]
	v_fma_f64 v[253:254], v[253:254], v[221:222], v[7:8]
	global_load_b128 v[221:224], v218, s[8:9] offset:28672
	s_wait_loadcnt_dscnt 0x0
	v_mul_f64_e32 v[1:2], v[21:22], v[223:224]
	v_mul_f64_e32 v[7:8], v[19:20], v[223:224]
	s_delay_alu instid0(VALU_DEP_2) | instskip(NEXT) | instid1(VALU_DEP_2)
	v_fma_f64 v[19:20], v[19:20], v[221:222], -v[1:2]
	v_fma_f64 v[21:22], v[21:22], v[221:222], v[7:8]
	global_load_b128 v[221:224], v218, s[8:9] offset:36864
	s_wait_loadcnt 0x0
	v_mul_f64_e32 v[1:2], v[26:27], v[223:224]
	v_mul_f64_e32 v[7:8], v[24:25], v[223:224]
	s_delay_alu instid0(VALU_DEP_2) | instskip(NEXT) | instid1(VALU_DEP_2)
	v_fma_f64 v[24:25], v[24:25], v[221:222], -v[1:2]
	v_fma_f64 v[26:27], v[26:27], v[221:222], v[7:8]
	global_load_b128 v[221:224], v218, s[8:9] offset:45056
	s_wait_loadcnt 0x0
	v_mul_f64_e32 v[1:2], v[30:31], v[223:224]
	v_mul_f64_e32 v[7:8], v[28:29], v[223:224]
	s_delay_alu instid0(VALU_DEP_2) | instskip(NEXT) | instid1(VALU_DEP_2)
	v_fma_f64 v[28:29], v[28:29], v[221:222], -v[1:2]
	v_fma_f64 v[30:31], v[30:31], v[221:222], v[7:8]
	ds_store_b128 v218, v[3:6]
	ds_store_b128 v218, v[243:246] offset:4096
	ds_store_b128 v218, v[9:12] offset:8192
	;; [unrolled: 1-line block ×11, first 2 shown]
	global_wb scope:SCOPE_SE
	s_wait_dscnt 0x0
	s_barrier_signal -1
	s_barrier_wait -1
	global_inv scope:SCOPE_SE
	ds_load_b128 v[1:4], v218 offset:16384
	ds_load_b128 v[5:8], v218
	ds_load_b128 v[9:12], v218 offset:32768
	s_wait_dscnt 0x1
	v_add_f64_e32 v[13:14], v[5:6], v[1:2]
	v_add_f64_e32 v[15:16], v[7:8], v[3:4]
	s_wait_dscnt 0x0
	v_add_f64_e32 v[17:18], v[1:2], v[9:10]
	v_add_f64_e64 v[19:20], v[3:4], -v[11:12]
	v_add_f64_e32 v[21:22], v[3:4], v[11:12]
	v_add_f64_e64 v[24:25], v[1:2], -v[9:10]
	v_add_f64_e32 v[26:27], v[13:14], v[9:10]
	v_add_f64_e32 v[28:29], v[15:16], v[11:12]
	ds_load_b128 v[1:4], v218 offset:24576
	ds_load_b128 v[9:12], v218 offset:8192
	;; [unrolled: 1-line block ×3, first 2 shown]
	v_fma_f64 v[17:18], v[17:18], -0.5, v[5:6]
	v_fma_f64 v[21:22], v[21:22], -0.5, v[7:8]
	s_wait_dscnt 0x1
	v_add_f64_e32 v[30:31], v[9:10], v[1:2]
	s_wait_dscnt 0x0
	v_add_f64_e32 v[221:222], v[3:4], v[15:16]
	v_add_f64_e32 v[34:35], v[11:12], v[3:4]
	v_add_f64_e32 v[223:224], v[1:2], v[13:14]
	v_add_f64_e64 v[233:234], v[1:2], -v[13:14]
	v_add_f64_e64 v[231:232], v[3:4], -v[15:16]
	v_add_f64_e32 v[13:14], v[30:31], v[13:14]
	v_fma_f64 v[30:31], v[221:222], -0.5, v[11:12]
	v_add_f64_e32 v[15:16], v[34:35], v[15:16]
	v_fma_f64 v[34:35], v[223:224], -0.5, v[9:10]
	s_delay_alu instid0(VALU_DEP_4) | instskip(NEXT) | instid1(VALU_DEP_4)
	v_add_f64_e32 v[1:2], v[26:27], v[13:14]
	v_fma_f64 v[9:10], v[233:234], s[2:3], v[30:31]
	v_add_f64_e64 v[5:6], v[26:27], -v[13:14]
	s_delay_alu instid0(VALU_DEP_4)
	v_fma_f64 v[13:14], v[231:232], s[12:13], v[34:35]
	v_add_f64_e32 v[3:4], v[28:29], v[15:16]
	v_add_f64_e64 v[7:8], v[28:29], -v[15:16]
	v_fma_f64 v[28:29], v[24:25], s[2:3], v[21:22]
	v_fma_f64 v[21:22], v[24:25], s[12:13], v[21:22]
	v_mul_f64_e32 v[11:12], s[12:13], v[9:10]
	v_mul_f64_e32 v[9:10], 0.5, v[9:10]
	s_delay_alu instid0(VALU_DEP_2) | instskip(NEXT) | instid1(VALU_DEP_2)
	v_fma_f64 v[15:16], v[13:14], 0.5, v[11:12]
	v_fma_f64 v[26:27], v[13:14], s[2:3], v[9:10]
	v_fma_f64 v[13:14], v[19:20], s[12:13], v[17:18]
	s_delay_alu instid0(VALU_DEP_2) | instskip(NEXT) | instid1(VALU_DEP_2)
	v_add_f64_e32 v[11:12], v[28:29], v[26:27]
	v_add_f64_e32 v[9:10], v[13:14], v[15:16]
	v_add_f64_e64 v[13:14], v[13:14], -v[15:16]
	v_add_f64_e64 v[15:16], v[28:29], -v[26:27]
	v_fma_f64 v[26:27], v[233:234], s[12:13], v[30:31]
	v_fma_f64 v[28:29], v[19:20], s[2:3], v[17:18]
	;; [unrolled: 1-line block ×3, first 2 shown]
	s_delay_alu instid0(VALU_DEP_3) | instskip(SKIP_1) | instid1(VALU_DEP_2)
	v_mul_f64_e32 v[19:20], s[12:13], v[26:27]
	v_mul_f64_e32 v[24:25], -0.5, v[26:27]
	v_fma_f64 v[26:27], v[17:18], -0.5, v[19:20]
	s_delay_alu instid0(VALU_DEP_2) | instskip(NEXT) | instid1(VALU_DEP_2)
	v_fma_f64 v[30:31], v[17:18], s[2:3], v[24:25]
	v_add_f64_e32 v[17:18], v[28:29], v[26:27]
	s_delay_alu instid0(VALU_DEP_2)
	v_add_f64_e32 v[19:20], v[21:22], v[30:31]
	v_add_f64_e64 v[24:25], v[28:29], -v[26:27]
	v_add_f64_e64 v[26:27], v[21:22], -v[30:31]
	ds_load_b128 v[28:31], v218 offset:4096
	ds_load_b128 v[221:224], v218 offset:20480
	;; [unrolled: 1-line block ×6, first 2 shown]
	global_wb scope:SCOPE_SE
	s_wait_dscnt 0x0
	s_barrier_signal -1
	s_barrier_wait -1
	global_inv scope:SCOPE_SE
	ds_store_b128 v220, v[1:4]
	ds_store_b128 v220, v[5:8] offset:48
	ds_store_b128 v220, v[9:12] offset:16
	;; [unrolled: 1-line block ×5, first 2 shown]
	v_add_f64_e32 v[1:2], v[28:29], v[221:222]
	v_add_f64_e32 v[3:4], v[30:31], v[223:224]
	;; [unrolled: 1-line block ×4, first 2 shown]
	v_add_f64_e64 v[19:20], v[221:222], -v[231:232]
	v_add_f64_e32 v[15:16], v[239:240], v[243:244]
	v_add_f64_e64 v[24:25], v[239:240], -v[243:244]
	v_add_f64_e64 v[17:18], v[223:224], -v[233:234]
	v_add_f64_e32 v[7:8], v[223:224], v[233:234]
	v_add_f64_e64 v[21:22], v[241:242], -v[245:246]
	v_add_f64_e32 v[9:10], v[1:2], v[231:232]
	v_add_f64_e32 v[1:2], v[235:236], v[239:240]
	;; [unrolled: 1-line block ×4, first 2 shown]
	v_fma_f64 v[220:221], v[13:14], -0.5, v[237:238]
	v_fma_f64 v[28:29], v[5:6], -0.5, v[28:29]
	;; [unrolled: 1-line block ×4, first 2 shown]
	v_add_f64_e32 v[26:27], v[1:2], v[243:244]
	v_add_f64_e32 v[34:35], v[3:4], v[245:246]
	s_delay_alu instid0(VALU_DEP_4) | instskip(NEXT) | instid1(VALU_DEP_3)
	v_fma_f64 v[13:14], v[21:22], s[12:13], v[222:223]
	v_add_f64_e32 v[1:2], v[9:10], v[26:27]
	v_add_f64_e64 v[5:6], v[9:10], -v[26:27]
	v_fma_f64 v[9:10], v[24:25], s[2:3], v[220:221]
	v_add_f64_e32 v[3:4], v[11:12], v[34:35]
	v_add_f64_e64 v[7:8], v[11:12], -v[34:35]
	v_fma_f64 v[34:35], v[19:20], s[2:3], v[30:31]
	v_fma_f64 v[24:25], v[24:25], s[12:13], v[220:221]
	v_mul_f64_e32 v[11:12], s[12:13], v[9:10]
	v_mul_f64_e32 v[9:10], 0.5, v[9:10]
	s_delay_alu instid0(VALU_DEP_2) | instskip(NEXT) | instid1(VALU_DEP_2)
	v_fma_f64 v[15:16], v[13:14], 0.5, v[11:12]
	v_fma_f64 v[26:27], v[13:14], s[2:3], v[9:10]
	v_fma_f64 v[13:14], v[17:18], s[12:13], v[28:29]
	s_delay_alu instid0(VALU_DEP_2) | instskip(NEXT) | instid1(VALU_DEP_2)
	v_add_f64_e32 v[11:12], v[34:35], v[26:27]
	v_add_f64_e32 v[9:10], v[13:14], v[15:16]
	v_add_f64_e64 v[13:14], v[13:14], -v[15:16]
	v_add_f64_e64 v[15:16], v[34:35], -v[26:27]
	v_fma_f64 v[26:27], v[17:18], s[2:3], v[28:29]
	v_fma_f64 v[28:29], v[19:20], s[12:13], v[30:31]
	;; [unrolled: 1-line block ×3, first 2 shown]
	v_mul_f64_e32 v[19:20], s[12:13], v[24:25]
	v_mul_f64_e32 v[21:22], -0.5, v[24:25]
	s_delay_alu instid0(VALU_DEP_2) | instskip(NEXT) | instid1(VALU_DEP_2)
	v_fma_f64 v[24:25], v[17:18], -0.5, v[19:20]
	v_fma_f64 v[21:22], v[17:18], s[2:3], v[21:22]
	s_lshl_b64 s[2:3], s[4:5], 13
	s_delay_alu instid0(VALU_DEP_2) | instskip(NEXT) | instid1(VALU_DEP_2)
	v_add_f64_e32 v[17:18], v[26:27], v[24:25]
	v_add_f64_e32 v[19:20], v[28:29], v[21:22]
	v_add_f64_e64 v[24:25], v[26:27], -v[24:25]
	v_add_f64_e64 v[26:27], v[28:29], -v[21:22]
	ds_store_b128 v219, v[1:4]
	ds_store_b128 v219, v[9:12] offset:16
	ds_store_b128 v219, v[17:20] offset:32
	;; [unrolled: 1-line block ×5, first 2 shown]
	global_wb scope:SCOPE_SE
	s_wait_dscnt 0x0
	s_barrier_signal -1
	s_barrier_wait -1
	global_inv scope:SCOPE_SE
	ds_load_b128 v[1:4], v218 offset:12288
	s_wait_dscnt 0x0
	v_mul_f64_e32 v[5:6], v[51:52], v[3:4]
	s_delay_alu instid0(VALU_DEP_1) | instskip(SKIP_1) | instid1(VALU_DEP_1)
	v_fma_f64 v[17:18], v[49:50], v[1:2], v[5:6]
	v_mul_f64_e32 v[1:2], v[51:52], v[1:2]
	v_fma_f64 v[19:20], v[49:50], v[3:4], -v[1:2]
	ds_load_b128 v[1:4], v218 offset:24576
	s_wait_dscnt 0x0
	v_mul_f64_e32 v[5:6], v[59:60], v[3:4]
	s_delay_alu instid0(VALU_DEP_1) | instskip(SKIP_1) | instid1(VALU_DEP_1)
	v_fma_f64 v[5:6], v[57:58], v[1:2], v[5:6]
	v_mul_f64_e32 v[1:2], v[59:60], v[1:2]
	v_fma_f64 v[7:8], v[57:58], v[3:4], -v[1:2]
	;; [unrolled: 7-line block ×4, first 2 shown]
	ds_load_b128 v[1:4], v218 offset:28672
	s_wait_dscnt 0x0
	v_mul_f64_e32 v[13:14], v[67:68], v[3:4]
	s_delay_alu instid0(VALU_DEP_1) | instskip(SKIP_2) | instid1(VALU_DEP_2)
	v_fma_f64 v[26:27], v[65:66], v[1:2], v[13:14]
	v_mul_f64_e32 v[1:2], v[67:68], v[1:2]
	v_add_f64_e64 v[67:68], v[17:18], -v[9:10]
	v_fma_f64 v[28:29], v[65:66], v[3:4], -v[1:2]
	ds_load_b128 v[1:4], v218 offset:40960
	v_add_f64_e64 v[65:66], v[19:20], -v[11:12]
	s_wait_dscnt 0x0
	v_mul_f64_e32 v[13:14], v[63:64], v[3:4]
	s_delay_alu instid0(VALU_DEP_1) | instskip(SKIP_1) | instid1(VALU_DEP_1)
	v_fma_f64 v[30:31], v[61:62], v[1:2], v[13:14]
	v_mul_f64_e32 v[1:2], v[63:64], v[1:2]
	v_fma_f64 v[34:35], v[61:62], v[3:4], -v[1:2]
	ds_load_b128 v[1:4], v218 offset:20480
	s_wait_dscnt 0x0
	v_mul_f64_e32 v[13:14], v[83:84], v[3:4]
	s_delay_alu instid0(VALU_DEP_1) | instskip(SKIP_1) | instid1(VALU_DEP_1)
	v_fma_f64 v[49:50], v[81:82], v[1:2], v[13:14]
	v_mul_f64_e32 v[1:2], v[83:84], v[1:2]
	v_fma_f64 v[51:52], v[81:82], v[3:4], -v[1:2]
	ds_load_b128 v[1:4], v218 offset:32768
	;; [unrolled: 7-line block ×3, first 2 shown]
	s_wait_dscnt 0x0
	v_mul_f64_e32 v[13:14], v[79:80], v[3:4]
	s_delay_alu instid0(VALU_DEP_1) | instskip(SKIP_1) | instid1(VALU_DEP_1)
	v_fma_f64 v[57:58], v[77:78], v[1:2], v[13:14]
	v_mul_f64_e32 v[1:2], v[79:80], v[1:2]
	v_fma_f64 v[59:60], v[77:78], v[3:4], -v[1:2]
	ds_load_b128 v[1:4], v218
	ds_load_b128 v[9:12], v218 offset:8192
	ds_load_b128 v[13:16], v218 offset:4096
	global_wb scope:SCOPE_SE
	s_wait_dscnt 0x0
	s_barrier_signal -1
	s_barrier_wait -1
	global_inv scope:SCOPE_SE
	v_add_f64_e64 v[5:6], v[1:2], -v[5:6]
	v_add_f64_e64 v[7:8], v[3:4], -v[7:8]
	s_delay_alu instid0(VALU_DEP_2) | instskip(NEXT) | instid1(VALU_DEP_2)
	v_fma_f64 v[61:62], v[1:2], 2.0, -v[5:6]
	v_fma_f64 v[63:64], v[3:4], 2.0, -v[7:8]
	v_add_f64_e32 v[1:2], v[5:6], v[65:66]
	v_add_f64_e64 v[3:4], v[7:8], -v[67:68]
	s_delay_alu instid0(VALU_DEP_2) | instskip(NEXT) | instid1(VALU_DEP_2)
	v_fma_f64 v[5:6], v[5:6], 2.0, -v[1:2]
	v_fma_f64 v[7:8], v[7:8], 2.0, -v[3:4]
	ds_store_b128 v32, v[1:4] offset:288
	v_fma_f64 v[1:2], v[17:18], 2.0, -v[67:68]
	v_fma_f64 v[3:4], v[19:20], 2.0, -v[65:66]
	s_delay_alu instid0(VALU_DEP_2) | instskip(NEXT) | instid1(VALU_DEP_2)
	v_add_f64_e64 v[1:2], v[61:62], -v[1:2]
	v_add_f64_e64 v[3:4], v[63:64], -v[3:4]
	s_delay_alu instid0(VALU_DEP_2) | instskip(NEXT) | instid1(VALU_DEP_2)
	v_fma_f64 v[17:18], v[61:62], 2.0, -v[1:2]
	v_fma_f64 v[19:20], v[63:64], 2.0, -v[3:4]
	ds_store_b128 v32, v[1:4] offset:192
	ds_store_b128 v32, v[5:8] offset:96
	ds_store_b128 v32, v[17:20]
	v_add_f64_e64 v[17:18], v[13:14], -v[26:27]
	v_add_f64_e64 v[19:20], v[15:16], -v[28:29]
	s_delay_alu instid0(VALU_DEP_2) | instskip(NEXT) | instid1(VALU_DEP_2)
	v_fma_f64 v[5:6], v[13:14], 2.0, -v[17:18]
	v_fma_f64 v[7:8], v[15:16], 2.0, -v[19:20]
	v_add_f64_e64 v[13:14], v[21:22], -v[30:31]
	v_add_f64_e64 v[15:16], v[24:25], -v[34:35]
	s_delay_alu instid0(VALU_DEP_2) | instskip(NEXT) | instid1(VALU_DEP_2)
	v_fma_f64 v[1:2], v[21:22], 2.0, -v[13:14]
	v_fma_f64 v[3:4], v[24:25], 2.0, -v[15:16]
	s_delay_alu instid0(VALU_DEP_2) | instskip(NEXT) | instid1(VALU_DEP_2)
	v_add_f64_e64 v[1:2], v[5:6], -v[1:2]
	v_add_f64_e64 v[3:4], v[7:8], -v[3:4]
	s_delay_alu instid0(VALU_DEP_2) | instskip(NEXT) | instid1(VALU_DEP_2)
	v_fma_f64 v[5:6], v[5:6], 2.0, -v[1:2]
	v_fma_f64 v[7:8], v[7:8], 2.0, -v[3:4]
	ds_store_b128 v33, v[5:8]
	v_add_f64_e32 v[5:6], v[17:18], v[15:16]
	v_add_f64_e64 v[7:8], v[19:20], -v[13:14]
	s_delay_alu instid0(VALU_DEP_2) | instskip(NEXT) | instid1(VALU_DEP_2)
	v_fma_f64 v[13:14], v[17:18], 2.0, -v[5:6]
	v_fma_f64 v[15:16], v[19:20], 2.0, -v[7:8]
	ds_store_b128 v33, v[13:16] offset:96
	ds_store_b128 v33, v[1:4] offset:192
	;; [unrolled: 1-line block ×3, first 2 shown]
	v_add_f64_e64 v[13:14], v[9:10], -v[53:54]
	v_add_f64_e64 v[15:16], v[11:12], -v[55:56]
	s_delay_alu instid0(VALU_DEP_2) | instskip(NEXT) | instid1(VALU_DEP_2)
	v_fma_f64 v[5:6], v[9:10], 2.0, -v[13:14]
	v_fma_f64 v[7:8], v[11:12], 2.0, -v[15:16]
	v_add_f64_e64 v[9:10], v[49:50], -v[57:58]
	v_add_f64_e64 v[11:12], v[51:52], -v[59:60]
	s_delay_alu instid0(VALU_DEP_2) | instskip(NEXT) | instid1(VALU_DEP_2)
	v_fma_f64 v[1:2], v[49:50], 2.0, -v[9:10]
	v_fma_f64 v[3:4], v[51:52], 2.0, -v[11:12]
	s_delay_alu instid0(VALU_DEP_2) | instskip(NEXT) | instid1(VALU_DEP_2)
	v_add_f64_e64 v[1:2], v[5:6], -v[1:2]
	v_add_f64_e64 v[3:4], v[7:8], -v[3:4]
	s_delay_alu instid0(VALU_DEP_2) | instskip(NEXT) | instid1(VALU_DEP_2)
	v_fma_f64 v[5:6], v[5:6], 2.0, -v[1:2]
	v_fma_f64 v[7:8], v[7:8], 2.0, -v[3:4]
	ds_store_b128 v255, v[5:8]
	v_add_f64_e32 v[5:6], v[13:14], v[11:12]
	v_add_f64_e64 v[7:8], v[15:16], -v[9:10]
	s_delay_alu instid0(VALU_DEP_2) | instskip(NEXT) | instid1(VALU_DEP_2)
	v_fma_f64 v[9:10], v[13:14], 2.0, -v[5:6]
	v_fma_f64 v[11:12], v[15:16], 2.0, -v[7:8]
	ds_store_b128 v255, v[9:12] offset:96
	ds_store_b128 v255, v[1:4] offset:192
	;; [unrolled: 1-line block ×3, first 2 shown]
	global_wb scope:SCOPE_SE
	s_wait_dscnt 0x0
	s_barrier_signal -1
	s_barrier_wait -1
	global_inv scope:SCOPE_SE
	ds_load_b128 v[1:4], v218 offset:12288
	s_wait_dscnt 0x0
	v_mul_f64_e32 v[5:6], v[87:88], v[3:4]
	s_delay_alu instid0(VALU_DEP_1) | instskip(SKIP_1) | instid1(VALU_DEP_1)
	v_fma_f64 v[17:18], v[85:86], v[1:2], v[5:6]
	v_mul_f64_e32 v[1:2], v[87:88], v[1:2]
	v_fma_f64 v[19:20], v[85:86], v[3:4], -v[1:2]
	ds_load_b128 v[1:4], v218 offset:24576
	s_wait_dscnt 0x0
	v_mul_f64_e32 v[5:6], v[95:96], v[3:4]
	s_delay_alu instid0(VALU_DEP_1) | instskip(SKIP_1) | instid1(VALU_DEP_1)
	v_fma_f64 v[5:6], v[93:94], v[1:2], v[5:6]
	v_mul_f64_e32 v[1:2], v[95:96], v[1:2]
	v_fma_f64 v[7:8], v[93:94], v[3:4], -v[1:2]
	ds_load_b128 v[1:4], v218 offset:36864
	s_wait_dscnt 0x0
	v_mul_f64_e32 v[9:10], v[91:92], v[3:4]
	s_delay_alu instid0(VALU_DEP_1) | instskip(SKIP_1) | instid1(VALU_DEP_2)
	v_fma_f64 v[9:10], v[89:90], v[1:2], v[9:10]
	v_mul_f64_e32 v[1:2], v[91:92], v[1:2]
	v_add_f64_e64 v[65:66], v[17:18], -v[9:10]
	s_delay_alu instid0(VALU_DEP_2) | instskip(SKIP_4) | instid1(VALU_DEP_2)
	v_fma_f64 v[11:12], v[89:90], v[3:4], -v[1:2]
	ds_load_b128 v[1:4], v218 offset:16384
	s_wait_dscnt 0x0
	v_mul_f64_e32 v[13:14], v[99:100], v[3:4]
	v_add_f64_e64 v[63:64], v[19:20], -v[11:12]
	v_fma_f64 v[21:22], v[97:98], v[1:2], v[13:14]
	v_mul_f64_e32 v[1:2], v[99:100], v[1:2]
	s_delay_alu instid0(VALU_DEP_1) | instskip(SKIP_3) | instid1(VALU_DEP_1)
	v_fma_f64 v[24:25], v[97:98], v[3:4], -v[1:2]
	ds_load_b128 v[1:4], v218 offset:28672
	s_wait_dscnt 0x0
	v_mul_f64_e32 v[13:14], v[103:104], v[3:4]
	v_fma_f64 v[26:27], v[101:102], v[1:2], v[13:14]
	v_mul_f64_e32 v[1:2], v[103:104], v[1:2]
	s_delay_alu instid0(VALU_DEP_1) | instskip(SKIP_3) | instid1(VALU_DEP_1)
	v_fma_f64 v[28:29], v[101:102], v[3:4], -v[1:2]
	ds_load_b128 v[1:4], v218 offset:40960
	s_wait_dscnt 0x0
	v_mul_f64_e32 v[13:14], v[107:108], v[3:4]
	;; [unrolled: 7-line block ×5, first 2 shown]
	v_fma_f64 v[55:56], v[117:118], v[1:2], v[13:14]
	v_mul_f64_e32 v[1:2], v[119:120], v[1:2]
	s_delay_alu instid0(VALU_DEP_1)
	v_fma_f64 v[57:58], v[117:118], v[3:4], -v[1:2]
	ds_load_b128 v[1:4], v218
	ds_load_b128 v[9:12], v218 offset:8192
	ds_load_b128 v[13:16], v218 offset:4096
	global_wb scope:SCOPE_SE
	s_wait_dscnt 0x0
	s_barrier_signal -1
	s_barrier_wait -1
	global_inv scope:SCOPE_SE
	v_add_f64_e64 v[5:6], v[1:2], -v[5:6]
	v_add_f64_e64 v[7:8], v[3:4], -v[7:8]
	s_delay_alu instid0(VALU_DEP_2) | instskip(NEXT) | instid1(VALU_DEP_2)
	v_fma_f64 v[59:60], v[1:2], 2.0, -v[5:6]
	v_fma_f64 v[61:62], v[3:4], 2.0, -v[7:8]
	v_add_f64_e32 v[1:2], v[5:6], v[63:64]
	v_add_f64_e64 v[3:4], v[7:8], -v[65:66]
	s_delay_alu instid0(VALU_DEP_2) | instskip(NEXT) | instid1(VALU_DEP_2)
	v_fma_f64 v[5:6], v[5:6], 2.0, -v[1:2]
	v_fma_f64 v[7:8], v[7:8], 2.0, -v[3:4]
	ds_store_b128 v225, v[1:4] offset:1152
	v_fma_f64 v[1:2], v[17:18], 2.0, -v[65:66]
	v_fma_f64 v[3:4], v[19:20], 2.0, -v[63:64]
	s_delay_alu instid0(VALU_DEP_2) | instskip(NEXT) | instid1(VALU_DEP_2)
	v_add_f64_e64 v[1:2], v[59:60], -v[1:2]
	v_add_f64_e64 v[3:4], v[61:62], -v[3:4]
	s_delay_alu instid0(VALU_DEP_2) | instskip(NEXT) | instid1(VALU_DEP_2)
	v_fma_f64 v[17:18], v[59:60], 2.0, -v[1:2]
	v_fma_f64 v[19:20], v[61:62], 2.0, -v[3:4]
	ds_store_b128 v225, v[1:4] offset:768
	ds_store_b128 v225, v[5:8] offset:384
	ds_store_b128 v225, v[17:20]
	v_add_f64_e64 v[17:18], v[13:14], -v[26:27]
	v_add_f64_e64 v[19:20], v[15:16], -v[28:29]
	s_delay_alu instid0(VALU_DEP_2) | instskip(NEXT) | instid1(VALU_DEP_2)
	v_fma_f64 v[5:6], v[13:14], 2.0, -v[17:18]
	v_fma_f64 v[7:8], v[15:16], 2.0, -v[19:20]
	v_add_f64_e64 v[13:14], v[21:22], -v[30:31]
	v_add_f64_e64 v[15:16], v[24:25], -v[32:33]
	s_delay_alu instid0(VALU_DEP_2) | instskip(NEXT) | instid1(VALU_DEP_2)
	v_fma_f64 v[1:2], v[21:22], 2.0, -v[13:14]
	v_fma_f64 v[3:4], v[24:25], 2.0, -v[15:16]
	s_delay_alu instid0(VALU_DEP_2) | instskip(NEXT) | instid1(VALU_DEP_2)
	v_add_f64_e64 v[1:2], v[5:6], -v[1:2]
	v_add_f64_e64 v[3:4], v[7:8], -v[3:4]
	s_delay_alu instid0(VALU_DEP_2) | instskip(NEXT) | instid1(VALU_DEP_2)
	v_fma_f64 v[5:6], v[5:6], 2.0, -v[1:2]
	v_fma_f64 v[7:8], v[7:8], 2.0, -v[3:4]
	ds_store_b128 v226, v[5:8]
	v_add_f64_e32 v[5:6], v[17:18], v[15:16]
	v_add_f64_e64 v[7:8], v[19:20], -v[13:14]
	s_delay_alu instid0(VALU_DEP_2) | instskip(NEXT) | instid1(VALU_DEP_2)
	v_fma_f64 v[13:14], v[17:18], 2.0, -v[5:6]
	v_fma_f64 v[15:16], v[19:20], 2.0, -v[7:8]
	ds_store_b128 v226, v[13:16] offset:384
	ds_store_b128 v226, v[1:4] offset:768
	;; [unrolled: 1-line block ×3, first 2 shown]
	v_add_f64_e64 v[13:14], v[9:10], -v[51:52]
	v_add_f64_e64 v[15:16], v[11:12], -v[53:54]
	s_delay_alu instid0(VALU_DEP_2) | instskip(NEXT) | instid1(VALU_DEP_2)
	v_fma_f64 v[5:6], v[9:10], 2.0, -v[13:14]
	v_fma_f64 v[7:8], v[11:12], 2.0, -v[15:16]
	v_add_f64_e64 v[9:10], v[34:35], -v[55:56]
	v_add_f64_e64 v[11:12], v[49:50], -v[57:58]
	s_delay_alu instid0(VALU_DEP_2) | instskip(NEXT) | instid1(VALU_DEP_2)
	v_fma_f64 v[1:2], v[34:35], 2.0, -v[9:10]
	v_fma_f64 v[3:4], v[49:50], 2.0, -v[11:12]
	s_delay_alu instid0(VALU_DEP_2) | instskip(NEXT) | instid1(VALU_DEP_2)
	v_add_f64_e64 v[1:2], v[5:6], -v[1:2]
	v_add_f64_e64 v[3:4], v[7:8], -v[3:4]
	s_delay_alu instid0(VALU_DEP_2) | instskip(NEXT) | instid1(VALU_DEP_2)
	v_fma_f64 v[5:6], v[5:6], 2.0, -v[1:2]
	v_fma_f64 v[7:8], v[7:8], 2.0, -v[3:4]
	ds_store_b128 v23, v[5:8]
	v_add_f64_e32 v[5:6], v[13:14], v[11:12]
	v_add_f64_e64 v[7:8], v[15:16], -v[9:10]
	s_delay_alu instid0(VALU_DEP_2) | instskip(NEXT) | instid1(VALU_DEP_2)
	v_fma_f64 v[9:10], v[13:14], 2.0, -v[5:6]
	v_fma_f64 v[11:12], v[15:16], 2.0, -v[7:8]
	ds_store_b128 v23, v[9:12] offset:384
	ds_store_b128 v23, v[1:4] offset:768
	;; [unrolled: 1-line block ×3, first 2 shown]
	global_wb scope:SCOPE_SE
	s_wait_dscnt 0x0
	s_barrier_signal -1
	s_barrier_wait -1
	global_inv scope:SCOPE_SE
	ds_load_b128 v[1:4], v218 offset:12288
	s_wait_dscnt 0x0
	v_mul_f64_e32 v[5:6], v[123:124], v[3:4]
	s_delay_alu instid0(VALU_DEP_1) | instskip(SKIP_1) | instid1(VALU_DEP_1)
	v_fma_f64 v[17:18], v[121:122], v[1:2], v[5:6]
	v_mul_f64_e32 v[1:2], v[123:124], v[1:2]
	v_fma_f64 v[19:20], v[121:122], v[3:4], -v[1:2]
	ds_load_b128 v[1:4], v218 offset:24576
	s_wait_dscnt 0x0
	v_mul_f64_e32 v[5:6], v[127:128], v[3:4]
	s_delay_alu instid0(VALU_DEP_1) | instskip(SKIP_1) | instid1(VALU_DEP_1)
	v_fma_f64 v[5:6], v[125:126], v[1:2], v[5:6]
	v_mul_f64_e32 v[1:2], v[127:128], v[1:2]
	v_fma_f64 v[7:8], v[125:126], v[3:4], -v[1:2]
	ds_load_b128 v[1:4], v218 offset:36864
	s_wait_dscnt 0x0
	v_mul_f64_e32 v[9:10], v[131:132], v[3:4]
	s_delay_alu instid0(VALU_DEP_1) | instskip(SKIP_1) | instid1(VALU_DEP_2)
	v_fma_f64 v[9:10], v[129:130], v[1:2], v[9:10]
	v_mul_f64_e32 v[1:2], v[131:132], v[1:2]
	v_add_f64_e64 v[63:64], v[17:18], -v[9:10]
	s_delay_alu instid0(VALU_DEP_2) | instskip(SKIP_4) | instid1(VALU_DEP_2)
	v_fma_f64 v[11:12], v[129:130], v[3:4], -v[1:2]
	ds_load_b128 v[1:4], v218 offset:16384
	s_wait_dscnt 0x0
	v_mul_f64_e32 v[13:14], v[135:136], v[3:4]
	v_add_f64_e64 v[61:62], v[19:20], -v[11:12]
	v_fma_f64 v[21:22], v[133:134], v[1:2], v[13:14]
	v_mul_f64_e32 v[1:2], v[135:136], v[1:2]
	s_delay_alu instid0(VALU_DEP_1) | instskip(SKIP_3) | instid1(VALU_DEP_1)
	v_fma_f64 v[23:24], v[133:134], v[3:4], -v[1:2]
	ds_load_b128 v[1:4], v218 offset:28672
	s_wait_dscnt 0x0
	v_mul_f64_e32 v[13:14], v[139:140], v[3:4]
	v_fma_f64 v[25:26], v[137:138], v[1:2], v[13:14]
	v_mul_f64_e32 v[1:2], v[139:140], v[1:2]
	s_delay_alu instid0(VALU_DEP_1) | instskip(SKIP_3) | instid1(VALU_DEP_1)
	v_fma_f64 v[27:28], v[137:138], v[3:4], -v[1:2]
	ds_load_b128 v[1:4], v218 offset:40960
	s_wait_dscnt 0x0
	v_mul_f64_e32 v[13:14], v[143:144], v[3:4]
	;; [unrolled: 7-line block ×5, first 2 shown]
	v_fma_f64 v[53:54], v[153:154], v[1:2], v[13:14]
	v_mul_f64_e32 v[1:2], v[155:156], v[1:2]
	s_delay_alu instid0(VALU_DEP_1)
	v_fma_f64 v[55:56], v[153:154], v[3:4], -v[1:2]
	ds_load_b128 v[1:4], v218
	ds_load_b128 v[9:12], v218 offset:8192
	ds_load_b128 v[13:16], v218 offset:4096
	global_wb scope:SCOPE_SE
	s_wait_dscnt 0x0
	s_barrier_signal -1
	s_barrier_wait -1
	global_inv scope:SCOPE_SE
	v_add_f64_e64 v[5:6], v[1:2], -v[5:6]
	v_add_f64_e64 v[7:8], v[3:4], -v[7:8]
	s_delay_alu instid0(VALU_DEP_2) | instskip(NEXT) | instid1(VALU_DEP_2)
	v_fma_f64 v[57:58], v[1:2], 2.0, -v[5:6]
	v_fma_f64 v[59:60], v[3:4], 2.0, -v[7:8]
	v_add_f64_e32 v[1:2], v[5:6], v[61:62]
	v_add_f64_e64 v[3:4], v[7:8], -v[63:64]
	s_delay_alu instid0(VALU_DEP_2) | instskip(NEXT) | instid1(VALU_DEP_2)
	v_fma_f64 v[5:6], v[5:6], 2.0, -v[1:2]
	v_fma_f64 v[7:8], v[7:8], 2.0, -v[3:4]
	ds_store_b128 v228, v[1:4] offset:4608
	v_fma_f64 v[1:2], v[17:18], 2.0, -v[63:64]
	v_fma_f64 v[3:4], v[19:20], 2.0, -v[61:62]
	s_delay_alu instid0(VALU_DEP_2) | instskip(NEXT) | instid1(VALU_DEP_2)
	v_add_f64_e64 v[1:2], v[57:58], -v[1:2]
	v_add_f64_e64 v[3:4], v[59:60], -v[3:4]
	s_delay_alu instid0(VALU_DEP_2) | instskip(NEXT) | instid1(VALU_DEP_2)
	v_fma_f64 v[17:18], v[57:58], 2.0, -v[1:2]
	v_fma_f64 v[19:20], v[59:60], 2.0, -v[3:4]
	ds_store_b128 v228, v[1:4] offset:3072
	ds_store_b128 v228, v[5:8] offset:1536
	ds_store_b128 v228, v[17:20]
	v_add_f64_e64 v[17:18], v[13:14], -v[25:26]
	v_add_f64_e64 v[19:20], v[15:16], -v[27:28]
	s_delay_alu instid0(VALU_DEP_2) | instskip(NEXT) | instid1(VALU_DEP_2)
	v_fma_f64 v[5:6], v[13:14], 2.0, -v[17:18]
	v_fma_f64 v[7:8], v[15:16], 2.0, -v[19:20]
	v_add_f64_e64 v[13:14], v[21:22], -v[29:30]
	v_add_f64_e64 v[15:16], v[23:24], -v[31:32]
	s_delay_alu instid0(VALU_DEP_2) | instskip(NEXT) | instid1(VALU_DEP_2)
	v_fma_f64 v[1:2], v[21:22], 2.0, -v[13:14]
	v_fma_f64 v[3:4], v[23:24], 2.0, -v[15:16]
	s_delay_alu instid0(VALU_DEP_2) | instskip(NEXT) | instid1(VALU_DEP_2)
	v_add_f64_e64 v[1:2], v[5:6], -v[1:2]
	v_add_f64_e64 v[3:4], v[7:8], -v[3:4]
	s_delay_alu instid0(VALU_DEP_2) | instskip(NEXT) | instid1(VALU_DEP_2)
	v_fma_f64 v[5:6], v[5:6], 2.0, -v[1:2]
	v_fma_f64 v[7:8], v[7:8], 2.0, -v[3:4]
	ds_store_b128 v229, v[5:8]
	v_add_f64_e32 v[5:6], v[17:18], v[15:16]
	v_add_f64_e64 v[7:8], v[19:20], -v[13:14]
	s_delay_alu instid0(VALU_DEP_2) | instskip(NEXT) | instid1(VALU_DEP_2)
	v_fma_f64 v[13:14], v[17:18], 2.0, -v[5:6]
	v_fma_f64 v[15:16], v[19:20], 2.0, -v[7:8]
	ds_store_b128 v229, v[13:16] offset:1536
	ds_store_b128 v229, v[1:4] offset:3072
	;; [unrolled: 1-line block ×3, first 2 shown]
	v_add_f64_e64 v[13:14], v[9:10], -v[49:50]
	v_add_f64_e64 v[15:16], v[11:12], -v[51:52]
	s_delay_alu instid0(VALU_DEP_2) | instskip(NEXT) | instid1(VALU_DEP_2)
	v_fma_f64 v[5:6], v[9:10], 2.0, -v[13:14]
	v_fma_f64 v[7:8], v[11:12], 2.0, -v[15:16]
	v_add_f64_e64 v[9:10], v[33:34], -v[53:54]
	v_add_f64_e64 v[11:12], v[35:36], -v[55:56]
	s_delay_alu instid0(VALU_DEP_2) | instskip(NEXT) | instid1(VALU_DEP_2)
	v_fma_f64 v[1:2], v[33:34], 2.0, -v[9:10]
	v_fma_f64 v[3:4], v[35:36], 2.0, -v[11:12]
	s_delay_alu instid0(VALU_DEP_2) | instskip(NEXT) | instid1(VALU_DEP_2)
	v_add_f64_e64 v[1:2], v[5:6], -v[1:2]
	v_add_f64_e64 v[3:4], v[7:8], -v[3:4]
	s_delay_alu instid0(VALU_DEP_2) | instskip(NEXT) | instid1(VALU_DEP_2)
	v_fma_f64 v[5:6], v[5:6], 2.0, -v[1:2]
	v_fma_f64 v[7:8], v[7:8], 2.0, -v[3:4]
	ds_store_b128 v227, v[5:8]
	v_add_f64_e32 v[5:6], v[13:14], v[11:12]
	v_add_f64_e64 v[7:8], v[15:16], -v[9:10]
	s_delay_alu instid0(VALU_DEP_2) | instskip(NEXT) | instid1(VALU_DEP_2)
	v_fma_f64 v[9:10], v[13:14], 2.0, -v[5:6]
	v_fma_f64 v[11:12], v[15:16], 2.0, -v[7:8]
	ds_store_b128 v227, v[9:12] offset:1536
	ds_store_b128 v227, v[1:4] offset:3072
	;; [unrolled: 1-line block ×3, first 2 shown]
	global_wb scope:SCOPE_SE
	s_wait_dscnt 0x0
	s_barrier_signal -1
	s_barrier_wait -1
	global_inv scope:SCOPE_SE
	ds_load_b128 v[1:4], v218 offset:12288
	s_wait_dscnt 0x0
	v_mul_f64_e32 v[5:6], v[159:160], v[3:4]
	s_delay_alu instid0(VALU_DEP_1) | instskip(SKIP_1) | instid1(VALU_DEP_1)
	v_fma_f64 v[17:18], v[157:158], v[1:2], v[5:6]
	v_mul_f64_e32 v[1:2], v[159:160], v[1:2]
	v_fma_f64 v[19:20], v[157:158], v[3:4], -v[1:2]
	ds_load_b128 v[1:4], v218 offset:24576
	s_wait_dscnt 0x0
	v_mul_f64_e32 v[5:6], v[163:164], v[3:4]
	s_delay_alu instid0(VALU_DEP_1) | instskip(SKIP_1) | instid1(VALU_DEP_1)
	v_fma_f64 v[5:6], v[161:162], v[1:2], v[5:6]
	v_mul_f64_e32 v[1:2], v[163:164], v[1:2]
	v_fma_f64 v[7:8], v[161:162], v[3:4], -v[1:2]
	ds_load_b128 v[1:4], v218 offset:36864
	s_wait_dscnt 0x0
	v_mul_f64_e32 v[9:10], v[167:168], v[3:4]
	s_delay_alu instid0(VALU_DEP_1) | instskip(SKIP_1) | instid1(VALU_DEP_2)
	v_fma_f64 v[9:10], v[165:166], v[1:2], v[9:10]
	v_mul_f64_e32 v[1:2], v[167:168], v[1:2]
	v_add_f64_e64 v[63:64], v[17:18], -v[9:10]
	s_delay_alu instid0(VALU_DEP_2) | instskip(SKIP_4) | instid1(VALU_DEP_2)
	v_fma_f64 v[11:12], v[165:166], v[3:4], -v[1:2]
	ds_load_b128 v[1:4], v218 offset:16384
	s_wait_dscnt 0x0
	v_mul_f64_e32 v[13:14], v[171:172], v[3:4]
	v_add_f64_e64 v[61:62], v[19:20], -v[11:12]
	v_fma_f64 v[21:22], v[169:170], v[1:2], v[13:14]
	v_mul_f64_e32 v[1:2], v[171:172], v[1:2]
	s_delay_alu instid0(VALU_DEP_1) | instskip(SKIP_3) | instid1(VALU_DEP_1)
	v_fma_f64 v[23:24], v[169:170], v[3:4], -v[1:2]
	ds_load_b128 v[1:4], v218 offset:28672
	s_wait_dscnt 0x0
	v_mul_f64_e32 v[13:14], v[175:176], v[3:4]
	v_fma_f64 v[25:26], v[173:174], v[1:2], v[13:14]
	v_mul_f64_e32 v[1:2], v[175:176], v[1:2]
	s_delay_alu instid0(VALU_DEP_1) | instskip(SKIP_3) | instid1(VALU_DEP_1)
	v_fma_f64 v[27:28], v[173:174], v[3:4], -v[1:2]
	ds_load_b128 v[1:4], v218 offset:40960
	s_wait_dscnt 0x0
	v_mul_f64_e32 v[13:14], v[179:180], v[3:4]
	;; [unrolled: 7-line block ×5, first 2 shown]
	v_fma_f64 v[53:54], v[193:194], v[1:2], v[13:14]
	v_mul_f64_e32 v[1:2], v[195:196], v[1:2]
	s_delay_alu instid0(VALU_DEP_1)
	v_fma_f64 v[55:56], v[193:194], v[3:4], -v[1:2]
	ds_load_b128 v[1:4], v218
	ds_load_b128 v[9:12], v218 offset:8192
	ds_load_b128 v[13:16], v218 offset:4096
	global_wb scope:SCOPE_SE
	s_wait_dscnt 0x0
	s_barrier_signal -1
	s_barrier_wait -1
	global_inv scope:SCOPE_SE
	v_add_f64_e64 v[5:6], v[1:2], -v[5:6]
	v_add_f64_e64 v[7:8], v[3:4], -v[7:8]
	s_delay_alu instid0(VALU_DEP_2) | instskip(NEXT) | instid1(VALU_DEP_2)
	v_fma_f64 v[57:58], v[1:2], 2.0, -v[5:6]
	v_fma_f64 v[59:60], v[3:4], 2.0, -v[7:8]
	v_add_f64_e32 v[1:2], v[5:6], v[61:62]
	v_add_f64_e64 v[3:4], v[7:8], -v[63:64]
	s_delay_alu instid0(VALU_DEP_2) | instskip(NEXT) | instid1(VALU_DEP_2)
	v_fma_f64 v[5:6], v[5:6], 2.0, -v[1:2]
	v_fma_f64 v[7:8], v[7:8], 2.0, -v[3:4]
	ds_store_b128 v218, v[1:4] offset:18432
	v_fma_f64 v[1:2], v[17:18], 2.0, -v[63:64]
	v_fma_f64 v[3:4], v[19:20], 2.0, -v[61:62]
	s_delay_alu instid0(VALU_DEP_2) | instskip(NEXT) | instid1(VALU_DEP_2)
	v_add_f64_e64 v[1:2], v[57:58], -v[1:2]
	v_add_f64_e64 v[3:4], v[59:60], -v[3:4]
	s_delay_alu instid0(VALU_DEP_2) | instskip(NEXT) | instid1(VALU_DEP_2)
	v_fma_f64 v[17:18], v[57:58], 2.0, -v[1:2]
	v_fma_f64 v[19:20], v[59:60], 2.0, -v[3:4]
	ds_store_b128 v218, v[1:4] offset:12288
	ds_store_b128 v218, v[5:8] offset:6144
	ds_store_b128 v218, v[17:20]
	v_add_f64_e64 v[17:18], v[13:14], -v[25:26]
	v_add_f64_e64 v[19:20], v[15:16], -v[27:28]
	s_delay_alu instid0(VALU_DEP_2) | instskip(NEXT) | instid1(VALU_DEP_2)
	v_fma_f64 v[5:6], v[13:14], 2.0, -v[17:18]
	v_fma_f64 v[7:8], v[15:16], 2.0, -v[19:20]
	v_add_f64_e64 v[13:14], v[21:22], -v[29:30]
	v_add_f64_e64 v[15:16], v[23:24], -v[31:32]
	s_delay_alu instid0(VALU_DEP_2) | instskip(NEXT) | instid1(VALU_DEP_2)
	v_fma_f64 v[1:2], v[21:22], 2.0, -v[13:14]
	v_fma_f64 v[3:4], v[23:24], 2.0, -v[15:16]
	s_delay_alu instid0(VALU_DEP_2) | instskip(NEXT) | instid1(VALU_DEP_2)
	v_add_f64_e64 v[1:2], v[5:6], -v[1:2]
	v_add_f64_e64 v[3:4], v[7:8], -v[3:4]
	s_delay_alu instid0(VALU_DEP_2) | instskip(NEXT) | instid1(VALU_DEP_2)
	v_fma_f64 v[5:6], v[5:6], 2.0, -v[1:2]
	v_fma_f64 v[7:8], v[7:8], 2.0, -v[3:4]
	ds_store_b128 v230, v[5:8]
	v_add_f64_e32 v[5:6], v[17:18], v[15:16]
	v_add_f64_e64 v[7:8], v[19:20], -v[13:14]
	s_delay_alu instid0(VALU_DEP_2) | instskip(NEXT) | instid1(VALU_DEP_2)
	v_fma_f64 v[13:14], v[17:18], 2.0, -v[5:6]
	v_fma_f64 v[15:16], v[19:20], 2.0, -v[7:8]
	ds_store_b128 v230, v[13:16] offset:6144
	ds_store_b128 v230, v[1:4] offset:12288
	;; [unrolled: 1-line block ×3, first 2 shown]
	v_add_f64_e64 v[5:6], v[9:10], -v[49:50]
	v_add_f64_e64 v[7:8], v[11:12], -v[51:52]
	;; [unrolled: 1-line block ×4, first 2 shown]
	s_delay_alu instid0(VALU_DEP_4) | instskip(NEXT) | instid1(VALU_DEP_4)
	v_fma_f64 v[9:10], v[9:10], 2.0, -v[5:6]
	v_fma_f64 v[11:12], v[11:12], 2.0, -v[7:8]
	s_delay_alu instid0(VALU_DEP_4) | instskip(NEXT) | instid1(VALU_DEP_4)
	v_add_f64_e32 v[1:2], v[5:6], v[13:14]
	v_add_f64_e64 v[3:4], v[7:8], -v[15:16]
	s_delay_alu instid0(VALU_DEP_2) | instskip(NEXT) | instid1(VALU_DEP_2)
	v_fma_f64 v[5:6], v[5:6], 2.0, -v[1:2]
	v_fma_f64 v[7:8], v[7:8], 2.0, -v[3:4]
	ds_store_b128 v218, v[5:8] offset:32768
	v_fma_f64 v[5:6], v[33:34], 2.0, -v[15:16]
	v_fma_f64 v[7:8], v[35:36], 2.0, -v[13:14]
	s_delay_alu instid0(VALU_DEP_2) | instskip(NEXT) | instid1(VALU_DEP_2)
	v_add_f64_e64 v[5:6], v[9:10], -v[5:6]
	v_add_f64_e64 v[7:8], v[11:12], -v[7:8]
	s_delay_alu instid0(VALU_DEP_2) | instskip(NEXT) | instid1(VALU_DEP_2)
	v_fma_f64 v[9:10], v[9:10], 2.0, -v[5:6]
	v_fma_f64 v[11:12], v[11:12], 2.0, -v[7:8]
	ds_store_b128 v218, v[5:8] offset:38912
	ds_store_b128 v218, v[9:12] offset:26624
	;; [unrolled: 1-line block ×3, first 2 shown]
	global_wb scope:SCOPE_SE
	s_wait_dscnt 0x0
	s_barrier_signal -1
	s_barrier_wait -1
	global_inv scope:SCOPE_SE
	ds_load_b128 v[1:4], v218 offset:24576
	ds_load_b128 v[17:20], v218 offset:8192
	;; [unrolled: 1-line block ×5, first 2 shown]
	s_wait_dscnt 0x4
	v_mul_f64_e32 v[5:6], v[191:192], v[3:4]
	s_delay_alu instid0(VALU_DEP_1) | instskip(SKIP_1) | instid1(VALU_DEP_1)
	v_fma_f64 v[5:6], v[189:190], v[1:2], v[5:6]
	v_mul_f64_e32 v[1:2], v[191:192], v[1:2]
	v_fma_f64 v[7:8], v[189:190], v[3:4], -v[1:2]
	ds_load_b128 v[1:4], v218 offset:28672
	s_wait_dscnt 0x0
	v_mul_f64_e32 v[9:10], v[199:200], v[3:4]
	s_delay_alu instid0(VALU_DEP_1) | instskip(SKIP_1) | instid1(VALU_DEP_1)
	v_fma_f64 v[13:14], v[197:198], v[1:2], v[9:10]
	v_mul_f64_e32 v[1:2], v[199:200], v[1:2]
	v_fma_f64 v[15:16], v[197:198], v[3:4], -v[1:2]
	ds_load_b128 v[1:4], v218 offset:32768
	s_wait_dscnt 0x0
	v_mul_f64_e32 v[9:10], v[203:204], v[3:4]
	s_delay_alu instid0(VALU_DEP_1) | instskip(SKIP_1) | instid1(VALU_DEP_2)
	v_fma_f64 v[21:22], v[201:202], v[1:2], v[9:10]
	v_mul_f64_e32 v[1:2], v[203:204], v[1:2]
	v_add_f64_e64 v[21:22], v[17:18], -v[21:22]
	s_delay_alu instid0(VALU_DEP_2)
	v_fma_f64 v[23:24], v[201:202], v[3:4], -v[1:2]
	ds_load_b128 v[1:4], v218 offset:36864
	s_wait_dscnt 0x0
	v_mul_f64_e32 v[9:10], v[207:208], v[3:4]
	v_fma_f64 v[17:18], v[17:18], 2.0, -v[21:22]
	v_add_f64_e64 v[23:24], v[19:20], -v[23:24]
	s_delay_alu instid0(VALU_DEP_3) | instskip(SKIP_1) | instid1(VALU_DEP_3)
	v_fma_f64 v[29:30], v[205:206], v[1:2], v[9:10]
	v_mul_f64_e32 v[1:2], v[207:208], v[1:2]
	v_fma_f64 v[19:20], v[19:20], 2.0, -v[23:24]
	s_delay_alu instid0(VALU_DEP_3) | instskip(NEXT) | instid1(VALU_DEP_3)
	v_add_f64_e64 v[29:30], v[25:26], -v[29:30]
	v_fma_f64 v[31:32], v[205:206], v[3:4], -v[1:2]
	ds_load_b128 v[1:4], v218 offset:40960
	s_wait_dscnt 0x0
	v_mul_f64_e32 v[9:10], v[211:212], v[3:4]
	v_fma_f64 v[25:26], v[25:26], 2.0, -v[29:30]
	v_add_f64_e64 v[31:32], v[27:28], -v[31:32]
	s_delay_alu instid0(VALU_DEP_3) | instskip(SKIP_1) | instid1(VALU_DEP_3)
	v_fma_f64 v[49:50], v[209:210], v[1:2], v[9:10]
	v_mul_f64_e32 v[1:2], v[211:212], v[1:2]
	v_fma_f64 v[27:28], v[27:28], 2.0, -v[31:32]
	s_delay_alu instid0(VALU_DEP_3) | instskip(NEXT) | instid1(VALU_DEP_3)
	v_add_f64_e64 v[49:50], v[33:34], -v[49:50]
	v_fma_f64 v[51:52], v[209:210], v[3:4], -v[1:2]
	ds_load_b128 v[1:4], v218 offset:45056
	s_wait_dscnt 0x0
	v_mul_f64_e32 v[9:10], v[215:216], v[3:4]
	v_fma_f64 v[33:34], v[33:34], 2.0, -v[49:50]
	v_add_f64_e64 v[51:52], v[35:36], -v[51:52]
	s_delay_alu instid0(VALU_DEP_3)
	v_fma_f64 v[57:58], v[213:214], v[1:2], v[9:10]
	v_mul_f64_e32 v[1:2], v[215:216], v[1:2]
	ds_load_b128 v[9:12], v218 offset:4096
	v_fma_f64 v[35:36], v[35:36], 2.0, -v[51:52]
	s_wait_dscnt 0x0
	v_add_f64_e64 v[13:14], v[9:10], -v[13:14]
	v_add_f64_e64 v[15:16], v[11:12], -v[15:16]
	;; [unrolled: 1-line block ×3, first 2 shown]
	v_fma_f64 v[59:60], v[213:214], v[3:4], -v[1:2]
	ds_load_b128 v[1:4], v218
	s_wait_dscnt 0x0
	v_add_f64_e64 v[5:6], v[1:2], -v[5:6]
	v_add_f64_e64 v[7:8], v[3:4], -v[7:8]
	v_fma_f64 v[9:10], v[9:10], 2.0, -v[13:14]
	v_fma_f64 v[11:12], v[11:12], 2.0, -v[15:16]
	v_fma_f64 v[53:54], v[53:54], 2.0, -v[57:58]
	v_add_f64_e64 v[59:60], v[55:56], -v[59:60]
	v_fma_f64 v[1:2], v[1:2], 2.0, -v[5:6]
	v_fma_f64 v[3:4], v[3:4], 2.0, -v[7:8]
	s_delay_alu instid0(VALU_DEP_3)
	v_fma_f64 v[55:56], v[55:56], 2.0, -v[59:60]
	ds_store_b128 v218, v[5:8] offset:24576
	ds_store_b128 v218, v[13:16] offset:28672
	;; [unrolled: 1-line block ×6, first 2 shown]
	ds_store_b128 v218, v[1:4]
	ds_store_b128 v218, v[9:12] offset:4096
	ds_store_b128 v218, v[17:20] offset:8192
	;; [unrolled: 1-line block ×5, first 2 shown]
	global_wb scope:SCOPE_SE
	s_wait_dscnt 0x0
	s_barrier_signal -1
	s_barrier_wait -1
	global_inv scope:SCOPE_SE
	s_clause 0x5
	scratch_load_b128 v[7:10], off, off offset:128 th:TH_LOAD_LU
	scratch_load_b128 v[49:52], off, off offset:96 th:TH_LOAD_LU
	scratch_load_b128 v[11:14], off, off th:TH_LOAD_LU
	scratch_load_b128 v[15:18], off, off offset:16 th:TH_LOAD_LU
	scratch_load_b128 v[19:22], off, off offset:32 th:TH_LOAD_LU
	;; [unrolled: 1-line block ×3, first 2 shown]
	ds_load_b128 v[1:4], v218
	s_clause 0x1
	scratch_load_b128 v[27:30], off, off offset:64 th:TH_LOAD_LU
	scratch_load_b128 v[31:34], off, off offset:80 th:TH_LOAD_LU
	s_wait_loadcnt_dscnt 0x700
	v_mul_f64_e32 v[5:6], v[9:10], v[3:4]
	s_delay_alu instid0(VALU_DEP_1) | instskip(SKIP_1) | instid1(VALU_DEP_1)
	v_fma_f64 v[5:6], v[7:8], v[1:2], v[5:6]
	v_mul_f64_e32 v[1:2], v[9:10], v[1:2]
	v_fma_f64 v[7:8], v[7:8], v[3:4], -v[1:2]
	ds_load_b128 v[1:4], v218 offset:8192
	s_wait_loadcnt_dscnt 0x500
	v_mul_f64_e32 v[9:10], v[13:14], v[3:4]
	s_delay_alu instid0(VALU_DEP_1) | instskip(SKIP_1) | instid1(VALU_DEP_1)
	v_fma_f64 v[9:10], v[11:12], v[1:2], v[9:10]
	v_mul_f64_e32 v[1:2], v[13:14], v[1:2]
	v_fma_f64 v[11:12], v[11:12], v[3:4], -v[1:2]
	ds_load_b128 v[1:4], v218 offset:16384
	;; [unrolled: 7-line block ×7, first 2 shown]
	s_wait_dscnt 0x0
	v_mul_f64_e32 v[33:34], v[51:52], v[3:4]
	s_delay_alu instid0(VALU_DEP_1)
	v_fma_f64 v[33:34], v[49:50], v[1:2], v[33:34]
	v_mul_f64_e32 v[1:2], v[51:52], v[1:2]
	scratch_load_b128 v[51:54], off, off offset:112 th:TH_LOAD_LU ; 16-byte Folded Reload
	v_fma_f64 v[35:36], v[49:50], v[3:4], -v[1:2]
	ds_load_b128 v[1:4], v218 offset:20480
	s_wait_loadcnt_dscnt 0x0
	v_mul_f64_e32 v[49:50], v[53:54], v[3:4]
	s_delay_alu instid0(VALU_DEP_1) | instskip(SKIP_1) | instid1(VALU_DEP_1)
	v_fma_f64 v[49:50], v[51:52], v[1:2], v[49:50]
	v_mul_f64_e32 v[1:2], v[53:54], v[1:2]
	v_fma_f64 v[51:52], v[51:52], v[3:4], -v[1:2]
	ds_load_b128 v[1:4], v218 offset:28672
	s_wait_dscnt 0x0
	v_mul_f64_e32 v[53:54], v[39:40], v[3:4]
	s_delay_alu instid0(VALU_DEP_1) | instskip(SKIP_1) | instid1(VALU_DEP_1)
	v_fma_f64 v[53:54], v[37:38], v[1:2], v[53:54]
	v_mul_f64_e32 v[1:2], v[39:40], v[1:2]
	v_fma_f64 v[37:38], v[37:38], v[3:4], -v[1:2]
	ds_load_b128 v[1:4], v218 offset:36864
	s_wait_dscnt 0x0
	;; [unrolled: 7-line block ×3, first 2 shown]
	v_mul_f64_e32 v[43:44], v[47:48], v[3:4]
	s_delay_alu instid0(VALU_DEP_1) | instskip(SKIP_1) | instid1(VALU_DEP_1)
	v_fma_f64 v[43:44], v[45:46], v[1:2], v[43:44]
	v_mul_f64_e32 v[1:2], v[47:48], v[1:2]
	v_fma_f64 v[45:46], v[45:46], v[3:4], -v[1:2]
	v_mad_co_u64_u32 v[1:2], null, s6, v217, 0
	s_delay_alu instid0(VALU_DEP_1) | instskip(SKIP_1) | instid1(VALU_DEP_1)
	v_mad_co_u64_u32 v[2:3], null, s7, v217, v[2:3]
	v_mad_co_u64_u32 v[3:4], null, s4, v0, 0
	;; [unrolled: 1-line block ×3, first 2 shown]
	s_delay_alu instid0(VALU_DEP_3) | instskip(NEXT) | instid1(VALU_DEP_2)
	v_lshlrev_b64_e32 v[0:1], 4, v[1:2]
	v_mov_b32_e32 v4, v47
	s_delay_alu instid0(VALU_DEP_2) | instskip(SKIP_1) | instid1(VALU_DEP_3)
	v_add_co_u32 v2, vcc_lo, s0, v0
	s_wait_alu 0xfffd
	v_add_co_ci_u32_e32 v48, vcc_lo, s1, v1, vcc_lo
	s_delay_alu instid0(VALU_DEP_3) | instskip(SKIP_2) | instid1(VALU_DEP_1)
	v_lshlrev_b64_e32 v[0:1], 4, v[3:4]
	s_mov_b32 s0, 0x55555555
	s_mov_b32 s1, 0x3f355555
	v_add_co_u32 v47, vcc_lo, v2, v0
	s_wait_alu 0xfffd
	s_delay_alu instid0(VALU_DEP_2)
	v_add_co_ci_u32_e32 v48, vcc_lo, v48, v1, vcc_lo
	s_wait_alu 0xfffe
	v_mul_f64_e32 v[0:1], s[0:1], v[5:6]
	v_mul_f64_e32 v[2:3], s[0:1], v[7:8]
	v_add_co_u32 v4, vcc_lo, v47, s2
	s_wait_alu 0xfffd
	v_add_co_ci_u32_e32 v5, vcc_lo, s3, v48, vcc_lo
	v_mul_f64_e32 v[6:7], s[0:1], v[27:28]
	global_store_b128 v[47:48], v[0:3], off
	v_mul_f64_e32 v[0:1], s[0:1], v[9:10]
	v_mul_f64_e32 v[2:3], s[0:1], v[11:12]
	;; [unrolled: 1-line block ×3, first 2 shown]
	global_store_b128 v[4:5], v[0:3], off
	v_mul_f64_e32 v[0:1], s[0:1], v[13:14]
	v_mul_f64_e32 v[2:3], s[0:1], v[15:16]
	v_add_co_u32 v4, vcc_lo, v4, s2
	s_wait_alu 0xfffd
	v_add_co_ci_u32_e32 v5, vcc_lo, s3, v5, vcc_lo
	v_mul_f64_e32 v[12:13], s[0:1], v[49:50]
	v_mul_f64_e32 v[14:15], s[0:1], v[51:52]
	global_store_b128 v[4:5], v[0:3], off
	v_mul_f64_e32 v[0:1], s[0:1], v[17:18]
	v_mul_f64_e32 v[2:3], s[0:1], v[19:20]
	v_add_co_u32 v4, vcc_lo, v4, s2
	s_wait_alu 0xfffd
	v_add_co_ci_u32_e32 v5, vcc_lo, s3, v5, vcc_lo
	v_mul_f64_e32 v[16:17], s[0:1], v[53:54]
	s_delay_alu instid0(VALU_DEP_3) | instskip(SKIP_1) | instid1(VALU_DEP_3)
	v_add_co_u32 v8, vcc_lo, v4, s2
	s_wait_alu 0xfffd
	v_add_co_ci_u32_e32 v9, vcc_lo, s3, v5, vcc_lo
	v_mul_f64_e32 v[18:19], s[0:1], v[37:38]
	s_delay_alu instid0(VALU_DEP_3) | instskip(SKIP_1) | instid1(VALU_DEP_3)
	v_add_co_u32 v47, vcc_lo, v8, s2
	s_wait_alu 0xfffd
	v_add_co_ci_u32_e32 v48, vcc_lo, s3, v9, vcc_lo
	s_delay_alu instid0(VALU_DEP_1) | instskip(NEXT) | instid1(VALU_DEP_1)
	v_mad_co_u64_u32 v[55:56], null, 0xffff7000, s4, v[47:48]
	v_add_co_u32 v28, vcc_lo, v55, s2
	global_store_b128 v[4:5], v[0:3], off
	v_mul_f64_e32 v[0:1], s[0:1], v[21:22]
	v_mul_f64_e32 v[2:3], s[0:1], v[23:24]
	;; [unrolled: 1-line block ×7, first 2 shown]
	global_store_b128 v[8:9], v[0:3], off
	v_mul_f64_e32 v[0:1], s[0:1], v[29:30]
	v_mul_f64_e32 v[2:3], s[0:1], v[31:32]
	;; [unrolled: 1-line block ×3, first 2 shown]
	s_mul_i32 s0, s5, 0xffff7000
	global_store_b128 v[47:48], v[4:7], off
	s_wait_alu 0xfffe
	s_sub_co_i32 s0, s0, s4
	s_wait_alu 0xfffe
	v_add_nc_u32_e32 v56, s0, v56
	s_wait_alu 0xfffd
	s_delay_alu instid0(VALU_DEP_1) | instskip(SKIP_2) | instid1(VALU_DEP_2)
	v_add_co_ci_u32_e32 v29, vcc_lo, s3, v56, vcc_lo
	v_add_co_u32 v30, vcc_lo, v28, s2
	s_wait_alu 0xfffd
	v_add_co_ci_u32_e32 v31, vcc_lo, s3, v29, vcc_lo
	s_delay_alu instid0(VALU_DEP_2) | instskip(SKIP_1) | instid1(VALU_DEP_2)
	v_add_co_u32 v4, vcc_lo, v30, s2
	s_wait_alu 0xfffd
	v_add_co_ci_u32_e32 v5, vcc_lo, s3, v31, vcc_lo
	s_delay_alu instid0(VALU_DEP_2) | instskip(SKIP_1) | instid1(VALU_DEP_2)
	;; [unrolled: 4-line block ×3, first 2 shown]
	v_add_co_u32 v32, vcc_lo, v6, s2
	s_wait_alu 0xfffd
	v_add_co_ci_u32_e32 v33, vcc_lo, s3, v7, vcc_lo
	global_store_b128 v[55:56], v[0:3], off
	global_store_b128 v[28:29], v[8:11], off
	global_store_b128 v[30:31], v[12:15], off
	global_store_b128 v[4:5], v[16:19], off
	global_store_b128 v[6:7], v[20:23], off
	global_store_b128 v[32:33], v[24:27], off
.LBB0_2:
	s_nop 0
	s_sendmsg sendmsg(MSG_DEALLOC_VGPRS)
	s_endpgm
	.section	.rodata,"a",@progbits
	.p2align	6, 0x0
	.amdhsa_kernel bluestein_single_fwd_len3072_dim1_dp_op_CI_CI
		.amdhsa_group_segment_fixed_size 49152
		.amdhsa_private_segment_fixed_size 148
		.amdhsa_kernarg_size 104
		.amdhsa_user_sgpr_count 2
		.amdhsa_user_sgpr_dispatch_ptr 0
		.amdhsa_user_sgpr_queue_ptr 0
		.amdhsa_user_sgpr_kernarg_segment_ptr 1
		.amdhsa_user_sgpr_dispatch_id 0
		.amdhsa_user_sgpr_private_segment_size 0
		.amdhsa_wavefront_size32 1
		.amdhsa_uses_dynamic_stack 0
		.amdhsa_enable_private_segment 1
		.amdhsa_system_sgpr_workgroup_id_x 1
		.amdhsa_system_sgpr_workgroup_id_y 0
		.amdhsa_system_sgpr_workgroup_id_z 0
		.amdhsa_system_sgpr_workgroup_info 0
		.amdhsa_system_vgpr_workitem_id 0
		.amdhsa_next_free_vgpr 256
		.amdhsa_next_free_sgpr 20
		.amdhsa_reserve_vcc 1
		.amdhsa_float_round_mode_32 0
		.amdhsa_float_round_mode_16_64 0
		.amdhsa_float_denorm_mode_32 3
		.amdhsa_float_denorm_mode_16_64 3
		.amdhsa_fp16_overflow 0
		.amdhsa_workgroup_processor_mode 1
		.amdhsa_memory_ordered 1
		.amdhsa_forward_progress 0
		.amdhsa_round_robin_scheduling 0
		.amdhsa_exception_fp_ieee_invalid_op 0
		.amdhsa_exception_fp_denorm_src 0
		.amdhsa_exception_fp_ieee_div_zero 0
		.amdhsa_exception_fp_ieee_overflow 0
		.amdhsa_exception_fp_ieee_underflow 0
		.amdhsa_exception_fp_ieee_inexact 0
		.amdhsa_exception_int_div_zero 0
	.end_amdhsa_kernel
	.text
.Lfunc_end0:
	.size	bluestein_single_fwd_len3072_dim1_dp_op_CI_CI, .Lfunc_end0-bluestein_single_fwd_len3072_dim1_dp_op_CI_CI
                                        ; -- End function
	.section	.AMDGPU.csdata,"",@progbits
; Kernel info:
; codeLenInByte = 15636
; NumSgprs: 22
; NumVgprs: 256
; ScratchSize: 148
; MemoryBound: 0
; FloatMode: 240
; IeeeMode: 1
; LDSByteSize: 49152 bytes/workgroup (compile time only)
; SGPRBlocks: 2
; VGPRBlocks: 31
; NumSGPRsForWavesPerEU: 22
; NumVGPRsForWavesPerEU: 256
; Occupancy: 4
; WaveLimiterHint : 1
; COMPUTE_PGM_RSRC2:SCRATCH_EN: 1
; COMPUTE_PGM_RSRC2:USER_SGPR: 2
; COMPUTE_PGM_RSRC2:TRAP_HANDLER: 0
; COMPUTE_PGM_RSRC2:TGID_X_EN: 1
; COMPUTE_PGM_RSRC2:TGID_Y_EN: 0
; COMPUTE_PGM_RSRC2:TGID_Z_EN: 0
; COMPUTE_PGM_RSRC2:TIDIG_COMP_CNT: 0
	.text
	.p2alignl 7, 3214868480
	.fill 96, 4, 3214868480
	.type	__hip_cuid_ce31ee0ef6a381f4,@object ; @__hip_cuid_ce31ee0ef6a381f4
	.section	.bss,"aw",@nobits
	.globl	__hip_cuid_ce31ee0ef6a381f4
__hip_cuid_ce31ee0ef6a381f4:
	.byte	0                               ; 0x0
	.size	__hip_cuid_ce31ee0ef6a381f4, 1

	.ident	"AMD clang version 19.0.0git (https://github.com/RadeonOpenCompute/llvm-project roc-6.4.0 25133 c7fe45cf4b819c5991fe208aaa96edf142730f1d)"
	.section	".note.GNU-stack","",@progbits
	.addrsig
	.addrsig_sym __hip_cuid_ce31ee0ef6a381f4
	.amdgpu_metadata
---
amdhsa.kernels:
  - .args:
      - .actual_access:  read_only
        .address_space:  global
        .offset:         0
        .size:           8
        .value_kind:     global_buffer
      - .actual_access:  read_only
        .address_space:  global
        .offset:         8
        .size:           8
        .value_kind:     global_buffer
      - .actual_access:  read_only
        .address_space:  global
        .offset:         16
        .size:           8
        .value_kind:     global_buffer
      - .actual_access:  read_only
        .address_space:  global
        .offset:         24
        .size:           8
        .value_kind:     global_buffer
      - .actual_access:  read_only
        .address_space:  global
        .offset:         32
        .size:           8
        .value_kind:     global_buffer
      - .offset:         40
        .size:           8
        .value_kind:     by_value
      - .address_space:  global
        .offset:         48
        .size:           8
        .value_kind:     global_buffer
      - .address_space:  global
        .offset:         56
        .size:           8
        .value_kind:     global_buffer
      - .address_space:  global
        .offset:         64
        .size:           8
        .value_kind:     global_buffer
      - .address_space:  global
        .offset:         72
        .size:           8
        .value_kind:     global_buffer
      - .offset:         80
        .size:           4
        .value_kind:     by_value
      - .address_space:  global
        .offset:         88
        .size:           8
        .value_kind:     global_buffer
      - .address_space:  global
        .offset:         96
        .size:           8
        .value_kind:     global_buffer
    .group_segment_fixed_size: 49152
    .kernarg_segment_align: 8
    .kernarg_segment_size: 104
    .language:       OpenCL C
    .language_version:
      - 2
      - 0
    .max_flat_workgroup_size: 256
    .name:           bluestein_single_fwd_len3072_dim1_dp_op_CI_CI
    .private_segment_fixed_size: 148
    .sgpr_count:     22
    .sgpr_spill_count: 0
    .symbol:         bluestein_single_fwd_len3072_dim1_dp_op_CI_CI.kd
    .uniform_work_group_size: 1
    .uses_dynamic_stack: false
    .vgpr_count:     256
    .vgpr_spill_count: 36
    .wavefront_size: 32
    .workgroup_processor_mode: 1
amdhsa.target:   amdgcn-amd-amdhsa--gfx1201
amdhsa.version:
  - 1
  - 2
...

	.end_amdgpu_metadata
